;; amdgpu-corpus repo=ROCm/rocFFT kind=compiled arch=gfx1201 opt=O3
	.text
	.amdgcn_target "amdgcn-amd-amdhsa--gfx1201"
	.amdhsa_code_object_version 6
	.protected	fft_rtc_back_len850_factors_10_5_17_wgs_85_tpt_85_dp_ip_CI_unitstride_sbrr_R2C_dirReg ; -- Begin function fft_rtc_back_len850_factors_10_5_17_wgs_85_tpt_85_dp_ip_CI_unitstride_sbrr_R2C_dirReg
	.globl	fft_rtc_back_len850_factors_10_5_17_wgs_85_tpt_85_dp_ip_CI_unitstride_sbrr_R2C_dirReg
	.p2align	8
	.type	fft_rtc_back_len850_factors_10_5_17_wgs_85_tpt_85_dp_ip_CI_unitstride_sbrr_R2C_dirReg,@function
fft_rtc_back_len850_factors_10_5_17_wgs_85_tpt_85_dp_ip_CI_unitstride_sbrr_R2C_dirReg: ; @fft_rtc_back_len850_factors_10_5_17_wgs_85_tpt_85_dp_ip_CI_unitstride_sbrr_R2C_dirReg
; %bb.0:
	s_clause 0x2
	s_load_b128 s[4:7], s[0:1], 0x0
	s_load_b64 s[8:9], s[0:1], 0x50
	s_load_b64 s[10:11], s[0:1], 0x18
	v_mul_u32_u24_e32 v1, 0x304, v0
	v_mov_b32_e32 v3, 0
	s_delay_alu instid0(VALU_DEP_2) | instskip(NEXT) | instid1(VALU_DEP_1)
	v_lshrrev_b32_e32 v1, 16, v1
	v_add_nc_u32_e32 v5, ttmp9, v1
	v_mov_b32_e32 v1, 0
	v_mov_b32_e32 v2, 0
	;; [unrolled: 1-line block ×3, first 2 shown]
	s_wait_kmcnt 0x0
	v_cmp_lt_u64_e64 s2, s[6:7], 2
	s_delay_alu instid0(VALU_DEP_1)
	s_and_b32 vcc_lo, exec_lo, s2
	s_cbranch_vccnz .LBB0_8
; %bb.1:
	s_load_b64 s[2:3], s[0:1], 0x10
	v_mov_b32_e32 v1, 0
	v_mov_b32_e32 v2, 0
	s_add_nc_u64 s[12:13], s[10:11], 8
	s_mov_b64 s[14:15], 1
	s_wait_kmcnt 0x0
	s_add_nc_u64 s[16:17], s[2:3], 8
	s_mov_b32 s3, 0
.LBB0_2:                                ; =>This Inner Loop Header: Depth=1
	s_load_b64 s[18:19], s[16:17], 0x0
                                        ; implicit-def: $vgpr7_vgpr8
	s_mov_b32 s2, exec_lo
	s_wait_kmcnt 0x0
	v_or_b32_e32 v4, s19, v6
	s_delay_alu instid0(VALU_DEP_1)
	v_cmpx_ne_u64_e32 0, v[3:4]
	s_wait_alu 0xfffe
	s_xor_b32 s20, exec_lo, s2
	s_cbranch_execz .LBB0_4
; %bb.3:                                ;   in Loop: Header=BB0_2 Depth=1
	s_cvt_f32_u32 s2, s18
	s_cvt_f32_u32 s21, s19
	s_sub_nc_u64 s[24:25], 0, s[18:19]
	s_wait_alu 0xfffe
	s_delay_alu instid0(SALU_CYCLE_1) | instskip(SKIP_1) | instid1(SALU_CYCLE_2)
	s_fmamk_f32 s2, s21, 0x4f800000, s2
	s_wait_alu 0xfffe
	v_s_rcp_f32 s2, s2
	s_delay_alu instid0(TRANS32_DEP_1) | instskip(SKIP_1) | instid1(SALU_CYCLE_2)
	s_mul_f32 s2, s2, 0x5f7ffffc
	s_wait_alu 0xfffe
	s_mul_f32 s21, s2, 0x2f800000
	s_wait_alu 0xfffe
	s_delay_alu instid0(SALU_CYCLE_2) | instskip(SKIP_1) | instid1(SALU_CYCLE_2)
	s_trunc_f32 s21, s21
	s_wait_alu 0xfffe
	s_fmamk_f32 s2, s21, 0xcf800000, s2
	s_cvt_u32_f32 s23, s21
	s_wait_alu 0xfffe
	s_delay_alu instid0(SALU_CYCLE_1) | instskip(SKIP_1) | instid1(SALU_CYCLE_2)
	s_cvt_u32_f32 s22, s2
	s_wait_alu 0xfffe
	s_mul_u64 s[26:27], s[24:25], s[22:23]
	s_wait_alu 0xfffe
	s_mul_hi_u32 s29, s22, s27
	s_mul_i32 s28, s22, s27
	s_mul_hi_u32 s2, s22, s26
	s_mul_i32 s30, s23, s26
	s_wait_alu 0xfffe
	s_add_nc_u64 s[28:29], s[2:3], s[28:29]
	s_mul_hi_u32 s21, s23, s26
	s_mul_hi_u32 s31, s23, s27
	s_add_co_u32 s2, s28, s30
	s_wait_alu 0xfffe
	s_add_co_ci_u32 s2, s29, s21
	s_mul_i32 s26, s23, s27
	s_add_co_ci_u32 s27, s31, 0
	s_wait_alu 0xfffe
	s_add_nc_u64 s[26:27], s[2:3], s[26:27]
	s_wait_alu 0xfffe
	v_add_co_u32 v4, s2, s22, s26
	s_delay_alu instid0(VALU_DEP_1) | instskip(SKIP_1) | instid1(VALU_DEP_1)
	s_cmp_lg_u32 s2, 0
	s_add_co_ci_u32 s23, s23, s27
	v_readfirstlane_b32 s22, v4
	s_wait_alu 0xfffe
	s_delay_alu instid0(VALU_DEP_1)
	s_mul_u64 s[24:25], s[24:25], s[22:23]
	s_wait_alu 0xfffe
	s_mul_hi_u32 s27, s22, s25
	s_mul_i32 s26, s22, s25
	s_mul_hi_u32 s2, s22, s24
	s_mul_i32 s28, s23, s24
	s_wait_alu 0xfffe
	s_add_nc_u64 s[26:27], s[2:3], s[26:27]
	s_mul_hi_u32 s21, s23, s24
	s_mul_hi_u32 s22, s23, s25
	s_wait_alu 0xfffe
	s_add_co_u32 s2, s26, s28
	s_add_co_ci_u32 s2, s27, s21
	s_mul_i32 s24, s23, s25
	s_add_co_ci_u32 s25, s22, 0
	s_wait_alu 0xfffe
	s_add_nc_u64 s[24:25], s[2:3], s[24:25]
	s_wait_alu 0xfffe
	v_add_co_u32 v4, s2, v4, s24
	s_delay_alu instid0(VALU_DEP_1) | instskip(SKIP_1) | instid1(VALU_DEP_1)
	s_cmp_lg_u32 s2, 0
	s_add_co_ci_u32 s2, s23, s25
	v_mul_hi_u32 v13, v5, v4
	s_wait_alu 0xfffe
	v_mad_co_u64_u32 v[7:8], null, v5, s2, 0
	v_mad_co_u64_u32 v[9:10], null, v6, v4, 0
	;; [unrolled: 1-line block ×3, first 2 shown]
	s_delay_alu instid0(VALU_DEP_3) | instskip(SKIP_1) | instid1(VALU_DEP_4)
	v_add_co_u32 v4, vcc_lo, v13, v7
	s_wait_alu 0xfffd
	v_add_co_ci_u32_e32 v7, vcc_lo, 0, v8, vcc_lo
	s_delay_alu instid0(VALU_DEP_2) | instskip(SKIP_1) | instid1(VALU_DEP_2)
	v_add_co_u32 v4, vcc_lo, v4, v9
	s_wait_alu 0xfffd
	v_add_co_ci_u32_e32 v4, vcc_lo, v7, v10, vcc_lo
	s_wait_alu 0xfffd
	v_add_co_ci_u32_e32 v7, vcc_lo, 0, v12, vcc_lo
	s_delay_alu instid0(VALU_DEP_2) | instskip(SKIP_1) | instid1(VALU_DEP_2)
	v_add_co_u32 v4, vcc_lo, v4, v11
	s_wait_alu 0xfffd
	v_add_co_ci_u32_e32 v9, vcc_lo, 0, v7, vcc_lo
	s_delay_alu instid0(VALU_DEP_2) | instskip(SKIP_1) | instid1(VALU_DEP_3)
	v_mul_lo_u32 v10, s19, v4
	v_mad_co_u64_u32 v[7:8], null, s18, v4, 0
	v_mul_lo_u32 v11, s18, v9
	s_delay_alu instid0(VALU_DEP_2) | instskip(NEXT) | instid1(VALU_DEP_2)
	v_sub_co_u32 v7, vcc_lo, v5, v7
	v_add3_u32 v8, v8, v11, v10
	s_delay_alu instid0(VALU_DEP_1) | instskip(SKIP_1) | instid1(VALU_DEP_1)
	v_sub_nc_u32_e32 v10, v6, v8
	s_wait_alu 0xfffd
	v_subrev_co_ci_u32_e64 v10, s2, s19, v10, vcc_lo
	v_add_co_u32 v11, s2, v4, 2
	s_wait_alu 0xf1ff
	v_add_co_ci_u32_e64 v12, s2, 0, v9, s2
	v_sub_co_u32 v13, s2, v7, s18
	v_sub_co_ci_u32_e32 v8, vcc_lo, v6, v8, vcc_lo
	s_wait_alu 0xf1ff
	v_subrev_co_ci_u32_e64 v10, s2, 0, v10, s2
	s_delay_alu instid0(VALU_DEP_3) | instskip(NEXT) | instid1(VALU_DEP_3)
	v_cmp_le_u32_e32 vcc_lo, s18, v13
	v_cmp_eq_u32_e64 s2, s19, v8
	s_wait_alu 0xfffd
	v_cndmask_b32_e64 v13, 0, -1, vcc_lo
	v_cmp_le_u32_e32 vcc_lo, s19, v10
	s_wait_alu 0xfffd
	v_cndmask_b32_e64 v14, 0, -1, vcc_lo
	v_cmp_le_u32_e32 vcc_lo, s18, v7
	;; [unrolled: 3-line block ×3, first 2 shown]
	s_wait_alu 0xfffd
	v_cndmask_b32_e64 v15, 0, -1, vcc_lo
	v_cmp_eq_u32_e32 vcc_lo, s19, v10
	s_wait_alu 0xf1ff
	s_delay_alu instid0(VALU_DEP_2)
	v_cndmask_b32_e64 v7, v15, v7, s2
	s_wait_alu 0xfffd
	v_cndmask_b32_e32 v10, v14, v13, vcc_lo
	v_add_co_u32 v13, vcc_lo, v4, 1
	s_wait_alu 0xfffd
	v_add_co_ci_u32_e32 v14, vcc_lo, 0, v9, vcc_lo
	s_delay_alu instid0(VALU_DEP_3) | instskip(SKIP_2) | instid1(VALU_DEP_3)
	v_cmp_ne_u32_e32 vcc_lo, 0, v10
	s_wait_alu 0xfffd
	v_cndmask_b32_e32 v10, v13, v11, vcc_lo
	v_cndmask_b32_e32 v8, v14, v12, vcc_lo
	v_cmp_ne_u32_e32 vcc_lo, 0, v7
	s_wait_alu 0xfffd
	s_delay_alu instid0(VALU_DEP_2)
	v_dual_cndmask_b32 v7, v4, v10 :: v_dual_cndmask_b32 v8, v9, v8
.LBB0_4:                                ;   in Loop: Header=BB0_2 Depth=1
	s_wait_alu 0xfffe
	s_and_not1_saveexec_b32 s2, s20
	s_cbranch_execz .LBB0_6
; %bb.5:                                ;   in Loop: Header=BB0_2 Depth=1
	v_cvt_f32_u32_e32 v4, s18
	s_sub_co_i32 s20, 0, s18
	s_delay_alu instid0(VALU_DEP_1) | instskip(NEXT) | instid1(TRANS32_DEP_1)
	v_rcp_iflag_f32_e32 v4, v4
	v_mul_f32_e32 v4, 0x4f7ffffe, v4
	s_delay_alu instid0(VALU_DEP_1) | instskip(SKIP_1) | instid1(VALU_DEP_1)
	v_cvt_u32_f32_e32 v4, v4
	s_wait_alu 0xfffe
	v_mul_lo_u32 v7, s20, v4
	s_delay_alu instid0(VALU_DEP_1) | instskip(NEXT) | instid1(VALU_DEP_1)
	v_mul_hi_u32 v7, v4, v7
	v_add_nc_u32_e32 v4, v4, v7
	s_delay_alu instid0(VALU_DEP_1) | instskip(NEXT) | instid1(VALU_DEP_1)
	v_mul_hi_u32 v4, v5, v4
	v_mul_lo_u32 v7, v4, s18
	v_add_nc_u32_e32 v8, 1, v4
	s_delay_alu instid0(VALU_DEP_2) | instskip(NEXT) | instid1(VALU_DEP_1)
	v_sub_nc_u32_e32 v7, v5, v7
	v_subrev_nc_u32_e32 v9, s18, v7
	v_cmp_le_u32_e32 vcc_lo, s18, v7
	s_wait_alu 0xfffd
	s_delay_alu instid0(VALU_DEP_2) | instskip(NEXT) | instid1(VALU_DEP_1)
	v_dual_cndmask_b32 v7, v7, v9 :: v_dual_cndmask_b32 v4, v4, v8
	v_cmp_le_u32_e32 vcc_lo, s18, v7
	s_delay_alu instid0(VALU_DEP_2) | instskip(SKIP_1) | instid1(VALU_DEP_1)
	v_add_nc_u32_e32 v8, 1, v4
	s_wait_alu 0xfffd
	v_dual_cndmask_b32 v7, v4, v8 :: v_dual_mov_b32 v8, v3
.LBB0_6:                                ;   in Loop: Header=BB0_2 Depth=1
	s_wait_alu 0xfffe
	s_or_b32 exec_lo, exec_lo, s2
	s_load_b64 s[20:21], s[12:13], 0x0
	s_delay_alu instid0(VALU_DEP_1)
	v_mul_lo_u32 v4, v8, s18
	v_mul_lo_u32 v11, v7, s19
	v_mad_co_u64_u32 v[9:10], null, v7, s18, 0
	s_add_nc_u64 s[14:15], s[14:15], 1
	s_add_nc_u64 s[12:13], s[12:13], 8
	s_wait_alu 0xfffe
	v_cmp_ge_u64_e64 s2, s[14:15], s[6:7]
	s_add_nc_u64 s[16:17], s[16:17], 8
	s_delay_alu instid0(VALU_DEP_2) | instskip(NEXT) | instid1(VALU_DEP_3)
	v_add3_u32 v4, v10, v11, v4
	v_sub_co_u32 v5, vcc_lo, v5, v9
	s_wait_alu 0xfffd
	s_delay_alu instid0(VALU_DEP_2) | instskip(SKIP_3) | instid1(VALU_DEP_2)
	v_sub_co_ci_u32_e32 v4, vcc_lo, v6, v4, vcc_lo
	s_and_b32 vcc_lo, exec_lo, s2
	s_wait_kmcnt 0x0
	v_mul_lo_u32 v6, s21, v5
	v_mul_lo_u32 v4, s20, v4
	v_mad_co_u64_u32 v[1:2], null, s20, v5, v[1:2]
	s_delay_alu instid0(VALU_DEP_1)
	v_add3_u32 v2, v6, v2, v4
	s_wait_alu 0xfffe
	s_cbranch_vccnz .LBB0_9
; %bb.7:                                ;   in Loop: Header=BB0_2 Depth=1
	v_dual_mov_b32 v5, v7 :: v_dual_mov_b32 v6, v8
	s_branch .LBB0_2
.LBB0_8:
	v_dual_mov_b32 v8, v6 :: v_dual_mov_b32 v7, v5
.LBB0_9:
	s_lshl_b64 s[2:3], s[6:7], 3
	v_mul_hi_u32 v3, 0x3030304, v0
	s_wait_alu 0xfffe
	s_add_nc_u64 s[2:3], s[10:11], s[2:3]
	s_load_b64 s[2:3], s[2:3], 0x0
	s_load_b64 s[0:1], s[0:1], 0x20
	s_delay_alu instid0(VALU_DEP_1) | instskip(NEXT) | instid1(VALU_DEP_1)
	v_mul_u32_u24_e32 v3, 0x55, v3
	v_sub_nc_u32_e32 v68, v0, v3
	s_delay_alu instid0(VALU_DEP_1)
	v_add_nc_u32_e32 v72, 0x55, v68
	s_wait_kmcnt 0x0
	v_mul_lo_u32 v4, s2, v8
	v_mul_lo_u32 v5, s3, v7
	v_mad_co_u64_u32 v[1:2], null, s2, v7, v[1:2]
	v_cmp_gt_u64_e32 vcc_lo, s[0:1], v[7:8]
	v_cmp_le_u64_e64 s0, s[0:1], v[7:8]
	s_delay_alu instid0(VALU_DEP_3) | instskip(NEXT) | instid1(VALU_DEP_2)
	v_add3_u32 v2, v5, v2, v4
	s_and_saveexec_b32 s1, s0
	s_wait_alu 0xfffe
	s_xor_b32 s0, exec_lo, s1
; %bb.10:
	v_add_nc_u32_e32 v72, 0x55, v68
; %bb.11:
	s_wait_alu 0xfffe
	s_or_saveexec_b32 s1, s0
	v_lshlrev_b64_e32 v[70:71], 4, v[1:2]
	v_lshl_add_u32 v243, v68, 4, 0
	s_wait_alu 0xfffe
	s_xor_b32 exec_lo, exec_lo, s1
	s_cbranch_execz .LBB0_13
; %bb.12:
	v_mov_b32_e32 v69, 0
	v_add_co_u32 v2, s0, s8, v70
	s_wait_alu 0xf1ff
	v_add_co_ci_u32_e64 v3, s0, s9, v71, s0
	s_delay_alu instid0(VALU_DEP_3) | instskip(NEXT) | instid1(VALU_DEP_1)
	v_lshlrev_b64_e32 v[0:1], 4, v[68:69]
	v_add_co_u32 v36, s0, v2, v0
	s_wait_alu 0xf1ff
	s_delay_alu instid0(VALU_DEP_2)
	v_add_co_ci_u32_e64 v37, s0, v3, v1, s0
	s_clause 0x9
	global_load_b128 v[0:3], v[36:37], off
	global_load_b128 v[4:7], v[36:37], off offset:1360
	global_load_b128 v[8:11], v[36:37], off offset:2720
	;; [unrolled: 1-line block ×9, first 2 shown]
	s_wait_loadcnt 0x9
	ds_store_b128 v243, v[0:3]
	s_wait_loadcnt 0x8
	ds_store_b128 v243, v[4:7] offset:1360
	s_wait_loadcnt 0x7
	ds_store_b128 v243, v[8:11] offset:2720
	;; [unrolled: 2-line block ×9, first 2 shown]
.LBB0_13:
	s_or_b32 exec_lo, exec_lo, s1
	global_wb scope:SCOPE_SE
	s_wait_dscnt 0x0
	s_barrier_signal -1
	s_barrier_wait -1
	global_inv scope:SCOPE_SE
	ds_load_b128 v[0:3], v243 offset:6800
	ds_load_b128 v[4:7], v243 offset:9520
	;; [unrolled: 1-line block ×9, first 2 shown]
	ds_load_b128 v[36:39], v243
	s_mov_b32 s0, 0x134454ff
	s_mov_b32 s1, 0xbfee6f0e
	;; [unrolled: 1-line block ×3, first 2 shown]
	s_wait_alu 0xfffe
	s_mov_b32 s2, s0
	s_mov_b32 s6, 0x4755a5e
	;; [unrolled: 1-line block ×4, first 2 shown]
	s_wait_alu 0xfffe
	s_mov_b32 s10, s6
	s_mov_b32 s12, 0x372fe950
	;; [unrolled: 1-line block ×5, first 2 shown]
	s_wait_dscnt 0x8
	v_add_f64_e32 v[40:41], v[2:3], v[6:7]
	v_add_f64_e32 v[44:45], v[0:1], v[4:5]
	s_wait_dscnt 0x6
	v_add_f64_e32 v[42:43], v[14:15], v[10:11]
	v_add_f64_e32 v[46:47], v[12:13], v[8:9]
	v_add_f64_e64 v[48:49], v[12:13], -v[8:9]
	v_add_f64_e64 v[50:51], v[0:1], -v[4:5]
	;; [unrolled: 1-line block ×3, first 2 shown]
	s_wait_dscnt 0x3
	v_add_f64_e32 v[54:55], v[20:21], v[24:25]
	s_wait_dscnt 0x2
	v_add_f64_e32 v[56:57], v[16:17], v[28:29]
	v_add_f64_e32 v[58:59], v[22:23], v[26:27]
	;; [unrolled: 1-line block ×3, first 2 shown]
	v_add_f64_e64 v[62:63], v[12:13], -v[0:1]
	v_add_f64_e64 v[64:65], v[8:9], -v[4:5]
	;; [unrolled: 1-line block ×7, first 2 shown]
	s_wait_dscnt 0x0
	v_add_f64_e32 v[87:88], v[36:37], v[16:17]
	v_add_f64_e32 v[91:92], v[38:39], v[18:19]
	;; [unrolled: 1-line block ×3, first 2 shown]
	v_add_f64_e64 v[89:90], v[18:19], -v[30:31]
	v_add_f64_e64 v[93:94], v[16:17], -v[28:29]
	;; [unrolled: 1-line block ×4, first 2 shown]
	s_mov_b32 s16, s12
	s_mov_b32 s15, 0x3fe9e377
	;; [unrolled: 1-line block ×3, first 2 shown]
	s_wait_alu 0xfffe
	s_mov_b32 s18, s14
	global_wb scope:SCOPE_SE
	s_barrier_signal -1
	s_barrier_wait -1
	global_inv scope:SCOPE_SE
	v_lshl_add_u32 v244, v72, 4, 0
	v_fma_f64 v[40:41], v[40:41], -0.5, v[34:35]
	v_fma_f64 v[44:45], v[44:45], -0.5, v[32:33]
	;; [unrolled: 1-line block ×4, first 2 shown]
	v_add_f64_e32 v[32:33], v[32:33], v[12:13]
	v_add_f64_e64 v[12:13], v[0:1], -v[12:13]
	v_add_f64_e64 v[34:35], v[4:5], -v[8:9]
	v_fma_f64 v[54:55], v[54:55], -0.5, v[36:37]
	v_fma_f64 v[36:37], v[56:57], -0.5, v[36:37]
	;; [unrolled: 1-line block ×4, first 2 shown]
	v_add_f64_e32 v[58:59], v[62:63], v[64:65]
	v_add_f64_e32 v[60:61], v[66:67], v[73:74]
	;; [unrolled: 1-line block ×3, first 2 shown]
	v_add_f64_e64 v[75:76], v[18:19], -v[22:23]
	v_add_f64_e64 v[18:19], v[22:23], -v[18:19]
	v_add_f64_e32 v[22:23], v[91:92], v[22:23]
	v_add_f64_e32 v[2:3], v[14:15], v[2:3]
	v_add_f64_e64 v[77:78], v[28:29], -v[24:25]
	v_fma_f64 v[81:82], v[48:49], s[2:3], v[40:41]
	v_fma_f64 v[85:86], v[52:53], s[0:1], v[44:45]
	;; [unrolled: 1-line block ×8, first 2 shown]
	v_add_f64_e32 v[0:1], v[32:33], v[0:1]
	v_add_f64_e32 v[12:13], v[12:13], v[34:35]
	v_fma_f64 v[14:15], v[89:90], s[0:1], v[54:55]
	v_fma_f64 v[32:33], v[89:90], s[2:3], v[54:55]
	;; [unrolled: 1-line block ×6, first 2 shown]
	v_add_f64_e32 v[22:23], v[22:23], v[26:27]
	v_add_f64_e32 v[2:3], v[2:3], v[6:7]
	v_fma_f64 v[66:67], v[50:51], s[10:11], v[81:82]
	v_add_f64_e64 v[81:82], v[24:25], -v[28:29]
	v_fma_f64 v[73:74], v[48:49], s[10:11], v[83:84]
	v_fma_f64 v[42:43], v[48:49], s[6:7], v[42:43]
	;; [unrolled: 1-line block ×4, first 2 shown]
	v_add_f64_e64 v[50:51], v[16:17], -v[20:21]
	v_add_f64_e64 v[16:17], v[20:21], -v[16:17]
	v_add_f64_e32 v[20:21], v[87:88], v[20:21]
	v_add_f64_e64 v[83:84], v[30:31], -v[26:27]
	v_fma_f64 v[87:88], v[97:98], s[0:1], v[38:39]
	v_fma_f64 v[38:39], v[97:98], s[2:3], v[38:39]
	v_fma_f64 v[44:45], v[79:80], s[10:11], v[44:45]
	v_fma_f64 v[64:65], v[52:53], s[6:7], v[64:65]
	v_fma_f64 v[46:47], v[52:53], s[10:11], v[46:47]
	v_add_f64_e64 v[85:86], v[26:27], -v[30:31]
	v_add_f64_e32 v[0:1], v[0:1], v[4:5]
	v_fma_f64 v[4:5], v[95:96], s[6:7], v[14:15]
	v_fma_f64 v[26:27], v[97:98], s[10:11], v[54:55]
	v_fma_f64 v[6:7], v[95:96], s[10:11], v[32:33]
	v_fma_f64 v[14:15], v[89:90], s[6:7], v[34:35]
	v_fma_f64 v[32:33], v[97:98], s[6:7], v[56:57]
	v_add_f64_e32 v[22:23], v[22:23], v[30:31]
	v_add_f64_e32 v[10:11], v[2:3], v[10:11]
	v_fma_f64 v[52:53], v[60:61], s[12:13], v[66:67]
	v_fma_f64 v[66:67], v[62:63], s[12:13], v[73:74]
	v_fma_f64 v[42:43], v[62:63], s[12:13], v[42:43]
	v_fma_f64 v[48:49], v[58:59], s[12:13], v[48:49]
	v_fma_f64 v[40:41], v[60:61], s[12:13], v[40:41]
	v_add_f64_e32 v[50:51], v[50:51], v[77:78]
	v_add_f64_e32 v[16:17], v[16:17], v[81:82]
	;; [unrolled: 1-line block ×4, first 2 shown]
	v_fma_f64 v[24:25], v[89:90], s[10:11], v[36:37]
	v_fma_f64 v[36:37], v[93:94], s[6:7], v[38:39]
	;; [unrolled: 1-line block ×5, first 2 shown]
	v_add_f64_e32 v[18:19], v[18:19], v[85:86]
	v_fma_f64 v[34:35], v[93:94], s[10:11], v[87:88]
	v_add_f64_e32 v[8:9], v[0:1], v[8:9]
	v_add_f64_e32 v[2:3], v[22:23], v[10:11]
	v_mul_f64_e32 v[46:47], s[6:7], v[52:53]
	v_mul_f64_e32 v[54:55], s[0:1], v[66:67]
	;; [unrolled: 1-line block ×7, first 2 shown]
	s_wait_alu 0xfffe
	v_mul_f64_e32 v[40:41], s[18:19], v[40:41]
	v_add_f64_e32 v[20:21], v[20:21], v[28:29]
	v_fma_f64 v[28:29], v[50:51], s[12:13], v[4:5]
	v_fma_f64 v[66:67], v[16:17], s[12:13], v[24:25]
	;; [unrolled: 1-line block ×8, first 2 shown]
	v_add_f64_e64 v[6:7], v[22:23], -v[10:11]
	v_fma_f64 v[24:25], v[48:49], s[14:15], v[46:47]
	v_fma_f64 v[32:33], v[44:45], s[12:13], v[54:55]
	;; [unrolled: 1-line block ×8, first 2 shown]
	v_add_f64_e32 v[0:1], v[20:21], v[8:9]
	v_add_f64_e64 v[4:5], v[20:21], -v[8:9]
	v_and_b32_e32 v40, 0xff, v68
	v_and_b32_e32 v41, 0xff, v72
	s_delay_alu instid0(VALU_DEP_2) | instskip(NEXT) | instid1(VALU_DEP_2)
	v_mul_lo_u16 v40, 0xcd, v40
	v_mul_lo_u16 v41, 0xcd, v41
	s_delay_alu instid0(VALU_DEP_2) | instskip(NEXT) | instid1(VALU_DEP_2)
	v_lshrrev_b16 v69, 11, v40
	v_lshrrev_b16 v109, 11, v41
	s_delay_alu instid0(VALU_DEP_2) | instskip(NEXT) | instid1(VALU_DEP_2)
	v_mul_lo_u16 v40, v69, 10
	v_mul_lo_u16 v41, v109, 10
	s_delay_alu instid0(VALU_DEP_2) | instskip(NEXT) | instid1(VALU_DEP_2)
	v_sub_nc_u16 v40, v68, v40
	v_sub_nc_u16 v41, v72, v41
	s_delay_alu instid0(VALU_DEP_2) | instskip(NEXT) | instid1(VALU_DEP_2)
	v_and_b32_e32 v110, 0xff, v40
	v_and_b32_e32 v111, 0xff, v41
	v_add_f64_e32 v[8:9], v[28:29], v[24:25]
	v_add_f64_e64 v[24:25], v[28:29], -v[24:25]
	v_add_f64_e32 v[12:13], v[50:51], v[32:33]
	v_add_f64_e32 v[14:15], v[34:35], v[44:45]
	;; [unrolled: 1-line block ×7, first 2 shown]
	v_add_f64_e64 v[26:27], v[26:27], -v[48:49]
	v_add_f64_e64 v[28:29], v[50:51], -v[32:33]
	;; [unrolled: 1-line block ×7, first 2 shown]
	v_mad_u32_u24 v42, 0x90, v68, v243
	v_lshlrev_b32_e32 v40, 6, v110
	ds_store_b128 v42, v[0:3]
	ds_store_b128 v42, v[8:11] offset:16
	ds_store_b128 v42, v[12:15] offset:32
	;; [unrolled: 1-line block ×9, first 2 shown]
	v_lshlrev_b32_e32 v28, 6, v111
	global_wb scope:SCOPE_SE
	s_wait_dscnt 0x0
	s_barrier_signal -1
	s_barrier_wait -1
	global_inv scope:SCOPE_SE
	s_clause 0x7
	global_load_b128 v[0:3], v40, s[4:5]
	global_load_b128 v[4:7], v40, s[4:5] offset:16
	global_load_b128 v[8:11], v40, s[4:5] offset:32
	;; [unrolled: 1-line block ×3, first 2 shown]
	global_load_b128 v[16:19], v28, s[4:5]
	global_load_b128 v[20:23], v28, s[4:5] offset:16
	global_load_b128 v[24:27], v28, s[4:5] offset:32
	;; [unrolled: 1-line block ×3, first 2 shown]
	ds_load_b128 v[32:35], v243 offset:2720
	ds_load_b128 v[36:39], v243 offset:5440
	;; [unrolled: 1-line block ×8, first 2 shown]
	ds_load_b128 v[64:67], v243
	s_wait_loadcnt_dscnt 0x405
	v_mul_f64_e32 v[79:80], v[46:47], v[14:15]
	v_mul_f64_e32 v[73:74], v[34:35], v[2:3]
	;; [unrolled: 1-line block ×8, first 2 shown]
	s_wait_loadcnt_dscnt 0x304
	v_mul_f64_e32 v[81:82], v[50:51], v[18:19]
	s_wait_loadcnt_dscnt 0x203
	v_mul_f64_e32 v[83:84], v[54:55], v[22:23]
	;; [unrolled: 2-line block ×3, first 2 shown]
	v_mul_f64_e32 v[18:19], v[48:49], v[18:19]
	s_wait_loadcnt_dscnt 0x1
	v_mul_f64_e32 v[87:88], v[62:63], v[30:31]
	v_mul_f64_e32 v[22:23], v[52:53], v[22:23]
	;; [unrolled: 1-line block ×4, first 2 shown]
	v_fma_f64 v[44:45], v[44:45], v[12:13], v[79:80]
	v_fma_f64 v[32:33], v[32:33], v[0:1], v[73:74]
	;; [unrolled: 1-line block ×4, first 2 shown]
	v_fma_f64 v[34:35], v[34:35], v[0:1], -v[2:3]
	v_fma_f64 v[4:5], v[38:39], v[4:5], -v[6:7]
	;; [unrolled: 1-line block ×4, first 2 shown]
	v_fma_f64 v[10:11], v[48:49], v[16:17], v[81:82]
	v_fma_f64 v[12:13], v[52:53], v[20:21], v[83:84]
	;; [unrolled: 1-line block ×3, first 2 shown]
	v_fma_f64 v[16:17], v[50:51], v[16:17], -v[18:19]
	v_fma_f64 v[18:19], v[60:61], v[28:29], v[87:88]
	v_fma_f64 v[20:21], v[54:55], v[20:21], -v[22:23]
	v_fma_f64 v[22:23], v[58:59], v[24:25], -v[26:27]
	;; [unrolled: 1-line block ×3, first 2 shown]
	ds_load_b128 v[0:3], v244
	global_wb scope:SCOPE_SE
	s_wait_dscnt 0x0
	s_barrier_signal -1
	s_barrier_wait -1
	global_inv scope:SCOPE_SE
	v_add_f64_e32 v[52:53], v[64:65], v[32:33]
	v_add_f64_e32 v[28:29], v[32:33], v[44:45]
	v_add_f64_e32 v[26:27], v[36:37], v[40:41]
	v_add_f64_e32 v[54:55], v[66:67], v[34:35]
	v_add_f64_e64 v[73:74], v[32:33], -v[44:45]
	v_add_f64_e32 v[30:31], v[4:5], v[6:7]
	v_add_f64_e32 v[38:39], v[34:35], v[8:9]
	v_add_f64_e32 v[56:57], v[0:1], v[10:11]
	v_add_f64_e64 v[60:61], v[34:35], -v[8:9]
	v_add_f64_e32 v[42:43], v[12:13], v[14:15]
	v_add_f64_e32 v[58:59], v[2:3], v[16:17]
	;; [unrolled: 1-line block ×3, first 2 shown]
	v_add_f64_e64 v[62:63], v[4:5], -v[6:7]
	v_add_f64_e32 v[48:49], v[20:21], v[22:23]
	v_add_f64_e32 v[50:51], v[16:17], v[24:25]
	v_add_f64_e64 v[75:76], v[16:17], -v[24:25]
	v_add_f64_e64 v[77:78], v[10:11], -v[18:19]
	;; [unrolled: 1-line block ×16, first 2 shown]
	v_fma_f64 v[28:29], v[28:29], -0.5, v[64:65]
	v_fma_f64 v[26:27], v[26:27], -0.5, v[64:65]
	v_add_f64_e64 v[64:65], v[36:37], -v[40:41]
	v_add_f64_e32 v[4:5], v[54:55], v[4:5]
	v_fma_f64 v[30:31], v[30:31], -0.5, v[66:67]
	v_fma_f64 v[38:39], v[38:39], -0.5, v[66:67]
	v_add_f64_e64 v[66:67], v[20:21], -v[22:23]
	v_fma_f64 v[42:43], v[42:43], -0.5, v[0:1]
	v_add_f64_e32 v[20:21], v[58:59], v[20:21]
	v_fma_f64 v[0:1], v[46:47], -0.5, v[0:1]
	v_add_f64_e64 v[46:47], v[12:13], -v[14:15]
	v_fma_f64 v[48:49], v[48:49], -0.5, v[2:3]
	v_fma_f64 v[2:3], v[50:51], -0.5, v[2:3]
	v_add_f64_e64 v[50:51], v[32:33], -v[36:37]
	v_add_f64_e64 v[32:33], v[36:37], -v[32:33]
	v_add_f64_e32 v[36:37], v[52:53], v[36:37]
	v_add_f64_e32 v[12:13], v[56:57], v[12:13]
	;; [unrolled: 1-line block ×4, first 2 shown]
	v_fma_f64 v[54:55], v[62:63], s[2:3], v[28:29]
	v_fma_f64 v[52:53], v[60:61], s[0:1], v[26:27]
	;; [unrolled: 1-line block ×16, first 2 shown]
	v_add_f64_e32 v[50:51], v[50:51], v[79:80]
	v_add_f64_e32 v[32:33], v[32:33], v[81:82]
	v_add_f64_e32 v[79:80], v[83:84], v[85:86]
	v_add_f64_e32 v[81:82], v[89:90], v[91:92]
	v_add_f64_e32 v[83:84], v[95:96], v[97:98]
	v_add_f64_e32 v[85:86], v[16:17], v[99:100]
	v_add_f64_e32 v[16:17], v[36:37], v[40:41]
	v_add_f64_e32 v[4:5], v[4:5], v[6:7]
	v_add_f64_e32 v[6:7], v[12:13], v[14:15]
	v_add_f64_e32 v[12:13], v[20:21], v[22:23]
	v_cmp_gt_u32_e64 s0, 50, v68
	v_fma_f64 v[22:23], v[60:61], s[6:7], v[54:55]
	v_fma_f64 v[14:15], v[62:63], s[6:7], v[52:53]
	;; [unrolled: 1-line block ×16, first 2 shown]
	v_add_f64_e32 v[0:1], v[16:17], v[44:45]
	v_add_f64_e32 v[2:3], v[4:5], v[8:9]
	;; [unrolled: 1-line block ×4, first 2 shown]
	v_and_b32_e32 v8, 0xffff, v69
	v_and_b32_e32 v9, 0xffff, v109
	s_delay_alu instid0(VALU_DEP_2) | instskip(NEXT) | instid1(VALU_DEP_2)
	v_mul_u32_u24_e32 v8, 0x320, v8
	v_mul_u32_u24_e32 v9, 0x320, v9
	v_fma_f64 v[4:5], v[32:33], s[12:13], v[22:23]
	v_fma_f64 v[12:13], v[50:51], s[12:13], v[14:15]
	v_fma_f64 v[20:21], v[50:51], s[12:13], v[20:21]
	v_fma_f64 v[16:17], v[32:33], s[12:13], v[26:27]
	v_fma_f64 v[14:15], v[79:80], s[12:13], v[28:29]
	v_fma_f64 v[22:23], v[79:80], s[12:13], v[30:31]
	v_fma_f64 v[6:7], v[34:35], s[12:13], v[40:41]
	v_fma_f64 v[18:19], v[34:35], s[12:13], v[52:53]
	v_fma_f64 v[40:41], v[81:82], s[12:13], v[54:55]
	v_fma_f64 v[52:53], v[81:82], s[12:13], v[42:43]
	v_fma_f64 v[44:45], v[10:11], s[12:13], v[56:57]
	v_fma_f64 v[48:49], v[10:11], s[12:13], v[58:59]
	v_fma_f64 v[42:43], v[83:84], s[12:13], v[60:61]
	v_fma_f64 v[46:47], v[85:86], s[12:13], v[62:63]
	v_fma_f64 v[50:51], v[85:86], s[12:13], v[64:65]
	v_fma_f64 v[54:55], v[83:84], s[12:13], v[66:67]
	v_lshlrev_b32_e32 v10, 4, v110
	v_lshlrev_b32_e32 v11, 4, v111
                                        ; implicit-def: $vgpr30_vgpr31
                                        ; implicit-def: $vgpr26_vgpr27
                                        ; implicit-def: $vgpr34_vgpr35
                                        ; implicit-def: $vgpr58_vgpr59
                                        ; implicit-def: $vgpr62_vgpr63
                                        ; implicit-def: $vgpr66_vgpr67
	s_delay_alu instid0(VALU_DEP_2) | instskip(NEXT) | instid1(VALU_DEP_2)
	v_add3_u32 v8, 0, v8, v10
	v_add3_u32 v9, 0, v9, v11
	ds_store_b128 v8, v[0:3]
	ds_store_b128 v8, v[12:15] offset:160
	ds_store_b128 v8, v[4:7] offset:320
	;; [unrolled: 1-line block ×4, first 2 shown]
	ds_store_b128 v9, v[36:39]
	ds_store_b128 v9, v[40:43] offset:160
	ds_store_b128 v9, v[44:47] offset:320
	;; [unrolled: 1-line block ×4, first 2 shown]
	global_wb scope:SCOPE_SE
	s_wait_dscnt 0x0
	s_barrier_signal -1
	s_barrier_wait -1
	global_inv scope:SCOPE_SE
                                        ; implicit-def: $vgpr10_vgpr11
	s_and_saveexec_b32 s1, s0
	s_cbranch_execz .LBB0_15
; %bb.14:
	ds_load_b128 v[0:3], v243
	ds_load_b128 v[12:15], v243 offset:800
	ds_load_b128 v[4:7], v243 offset:1600
	;; [unrolled: 1-line block ×16, first 2 shown]
.LBB0_15:
	s_wait_alu 0xfffe
	s_or_b32 exec_lo, exec_lo, s1
	v_lshlrev_b32_e32 v69, 4, v68
	global_wb scope:SCOPE_SE
	s_wait_dscnt 0x0
	s_barrier_signal -1
	s_barrier_wait -1
	global_inv scope:SCOPE_SE
	s_and_saveexec_b32 s33, s0
	s_cbranch_execz .LBB0_17
; %bb.16:
	v_dual_mov_b32 v74, 0 :: v_dual_add_nc_u32 v73, 0xfffffce0, v69
	s_mov_b32 s44, 0xeb564b22
	s_mov_b32 s45, 0x3fefdd0d
	;; [unrolled: 1-line block ×3, first 2 shown]
	s_delay_alu instid0(VALU_DEP_1)
	v_cndmask_b32_e64 v73, v73, v69, s0
	s_mov_b32 s12, s44
	s_mov_b32 s10, 0x923c349f
	;; [unrolled: 1-line block ×4, first 2 shown]
	v_lshlrev_b64_e32 v[73:74], 4, v[73:74]
	s_mov_b32 s42, 0x2a9d6da3
	s_mov_b32 s2, 0x4363dd80
	;; [unrolled: 1-line block ×5, first 2 shown]
	v_add_co_u32 v97, s0, s4, v73
	s_wait_alu 0xf1ff
	v_add_co_ci_u32_e64 v98, s0, s5, v74, s0
	s_mov_b32 s0, 0xacd6c6b4
	s_mov_b32 s39, 0x3feca52d
	s_mov_b32 s7, 0xbfe9895b
	s_clause 0x1
	global_load_b128 v[75:78], v[97:98], off offset:752
	global_load_b128 v[79:82], v[97:98], off offset:736
	s_mov_b32 s43, 0x3fe58eea
	s_mov_b32 s3, 0xbfe0d888
	;; [unrolled: 1-line block ×26, first 2 shown]
	s_wait_alu 0xfffe
	s_mov_b32 s48, s6
	s_mov_b32 s47, 0x3feec746
	s_mov_b32 s46, s10
	s_mov_b32 s51, 0x3fe0d888
	s_mov_b32 s50, s2
	s_wait_loadcnt 0x1
	v_mul_f64_e32 v[73:74], v[50:51], v[77:78]
	s_delay_alu instid0(VALU_DEP_1) | instskip(SKIP_1) | instid1(VALU_DEP_1)
	v_fma_f64 v[73:74], v[48:49], v[75:76], v[73:74]
	v_mul_f64_e32 v[48:49], v[48:49], v[77:78]
	v_fma_f64 v[48:49], v[50:51], v[75:76], -v[48:49]
	s_clause 0x1
	global_load_b128 v[75:78], v[97:98], off offset:768
	global_load_b128 v[83:86], v[97:98], off offset:784
	s_wait_loadcnt 0x1
	v_mul_f64_e32 v[50:51], v[54:55], v[77:78]
	s_delay_alu instid0(VALU_DEP_1) | instskip(SKIP_1) | instid1(VALU_DEP_2)
	v_fma_f64 v[50:51], v[52:53], v[75:76], v[50:51]
	v_mul_f64_e32 v[52:53], v[52:53], v[77:78]
	v_add_f64_e64 v[181:182], v[73:74], -v[50:51]
	s_delay_alu instid0(VALU_DEP_2) | instskip(SKIP_2) | instid1(VALU_DEP_4)
	v_fma_f64 v[52:53], v[54:55], v[75:76], -v[52:53]
	v_mul_f64_e32 v[54:55], v[46:47], v[81:82]
	v_add_f64_e32 v[147:148], v[73:74], v[50:51]
	v_mul_f64_e32 v[215:216], s[44:45], v[181:182]
	s_delay_alu instid0(VALU_DEP_4) | instskip(NEXT) | instid1(VALU_DEP_4)
	v_add_f64_e64 v[183:184], v[48:49], -v[52:53]
	v_fma_f64 v[54:55], v[44:45], v[79:80], v[54:55]
	v_mul_f64_e32 v[44:45], v[44:45], v[81:82]
	s_delay_alu instid0(VALU_DEP_3) | instskip(NEXT) | instid1(VALU_DEP_2)
	v_mul_f64_e32 v[217:218], s[44:45], v[183:184]
	v_fma_f64 v[77:78], v[46:47], v[79:80], -v[44:45]
	s_wait_loadcnt 0x0
	v_mul_f64_e32 v[44:45], v[66:67], v[85:86]
	s_delay_alu instid0(VALU_DEP_1) | instskip(SKIP_1) | instid1(VALU_DEP_2)
	v_fma_f64 v[75:76], v[64:65], v[83:84], v[44:45]
	v_mul_f64_e32 v[44:45], v[64:65], v[85:86]
	v_add_f64_e64 v[177:178], v[54:55], -v[75:76]
	s_delay_alu instid0(VALU_DEP_2)
	v_fma_f64 v[64:65], v[66:67], v[83:84], -v[44:45]
	s_clause 0x1
	global_load_b128 v[44:47], v[97:98], off offset:720
	global_load_b128 v[85:88], v[97:98], off offset:704
	v_mul_f64_e32 v[209:210], s[10:11], v[177:178]
	v_add_f64_e64 v[179:180], v[77:78], -v[64:65]
	v_mul_f64_e32 v[225:226], s[12:13], v[177:178]
	s_delay_alu instid0(VALU_DEP_2) | instskip(SKIP_2) | instid1(VALU_DEP_1)
	v_mul_f64_e32 v[211:212], s[10:11], v[179:180]
	s_wait_loadcnt 0x1
	v_mul_f64_e32 v[66:67], v[42:43], v[46:47]
	v_fma_f64 v[79:80], v[40:41], v[44:45], v[66:67]
	v_mul_f64_e32 v[40:41], v[40:41], v[46:47]
	s_delay_alu instid0(VALU_DEP_1)
	v_fma_f64 v[81:82], v[42:43], v[44:45], -v[40:41]
	s_clause 0x1
	global_load_b128 v[40:43], v[97:98], off offset:800
	global_load_b128 v[44:47], v[97:98], off offset:816
	s_wait_loadcnt 0x1
	v_mul_f64_e32 v[66:67], v[62:63], v[42:43]
	v_mul_f64_e32 v[42:43], v[60:61], v[42:43]
	s_delay_alu instid0(VALU_DEP_2) | instskip(NEXT) | instid1(VALU_DEP_2)
	v_fma_f64 v[66:67], v[60:61], v[40:41], v[66:67]
	v_fma_f64 v[60:61], v[62:63], v[40:41], -v[42:43]
	v_mul_f64_e32 v[40:41], v[38:39], v[87:88]
	s_delay_alu instid0(VALU_DEP_3) | instskip(NEXT) | instid1(VALU_DEP_3)
	v_add_f64_e64 v[169:170], v[79:80], -v[66:67]
	v_add_f64_e64 v[171:172], v[81:82], -v[60:61]
	s_delay_alu instid0(VALU_DEP_3) | instskip(SKIP_1) | instid1(VALU_DEP_4)
	v_fma_f64 v[83:84], v[36:37], v[85:86], v[40:41]
	v_mul_f64_e32 v[36:37], v[36:37], v[87:88]
	v_mul_f64_e32 v[205:206], s[38:39], v[169:170]
	s_delay_alu instid0(VALU_DEP_4) | instskip(SKIP_1) | instid1(VALU_DEP_4)
	v_mul_f64_e32 v[207:208], s[38:39], v[171:172]
	v_mul_f64_e32 v[229:230], s[40:41], v[169:170]
	v_fma_f64 v[85:86], v[38:39], v[85:86], -v[36:37]
	s_wait_loadcnt 0x0
	v_mul_f64_e32 v[36:37], v[58:59], v[46:47]
	v_mul_f64_e32 v[223:224], s[40:41], v[171:172]
	s_delay_alu instid0(VALU_DEP_2) | instskip(SKIP_1) | instid1(VALU_DEP_2)
	v_fma_f64 v[62:63], v[56:57], v[44:45], v[36:37]
	v_mul_f64_e32 v[36:37], v[56:57], v[46:47]
	v_add_f64_e64 v[165:166], v[83:84], -v[62:63]
	s_delay_alu instid0(VALU_DEP_2)
	v_fma_f64 v[56:57], v[58:59], v[44:45], -v[36:37]
	s_clause 0x1
	global_load_b128 v[36:39], v[97:98], off offset:688
	global_load_b128 v[40:43], v[97:98], off offset:672
	v_mul_f64_e32 v[201:202], s[6:7], v[165:166]
	v_add_f64_e64 v[167:168], v[85:86], -v[56:57]
	v_mul_f64_e32 v[233:234], s[42:43], v[165:166]
	s_delay_alu instid0(VALU_DEP_2) | instskip(SKIP_3) | instid1(VALU_DEP_1)
	v_mul_f64_e32 v[203:204], s[6:7], v[167:168]
	v_mul_f64_e32 v[227:228], s[42:43], v[167:168]
	s_wait_loadcnt 0x1
	v_mul_f64_e32 v[44:45], v[22:23], v[38:39]
	v_fma_f64 v[58:59], v[20:21], v[36:37], v[44:45]
	v_mul_f64_e32 v[20:21], v[20:21], v[38:39]
	s_delay_alu instid0(VALU_DEP_1)
	v_fma_f64 v[87:88], v[22:23], v[36:37], -v[20:21]
	s_clause 0x1
	global_load_b128 v[20:23], v[97:98], off offset:832
	global_load_b128 v[36:39], v[97:98], off offset:848
	s_wait_loadcnt 0x1
	v_mul_f64_e32 v[44:45], v[34:35], v[22:23]
	v_mul_f64_e32 v[22:23], v[32:33], v[22:23]
	s_delay_alu instid0(VALU_DEP_2) | instskip(NEXT) | instid1(VALU_DEP_2)
	v_fma_f64 v[89:90], v[32:33], v[20:21], v[44:45]
	v_fma_f64 v[91:92], v[34:35], v[20:21], -v[22:23]
	v_mul_f64_e32 v[20:21], v[18:19], v[42:43]
	s_delay_alu instid0(VALU_DEP_3) | instskip(NEXT) | instid1(VALU_DEP_3)
	v_add_f64_e64 v[161:162], v[58:59], -v[89:90]
	v_add_f64_e64 v[163:164], v[87:88], -v[91:92]
	s_delay_alu instid0(VALU_DEP_3) | instskip(SKIP_1) | instid1(VALU_DEP_4)
	v_fma_f64 v[93:94], v[16:17], v[40:41], v[20:21]
	v_mul_f64_e32 v[16:17], v[16:17], v[42:43]
	v_mul_f64_e32 v[237:238], s[46:47], v[161:162]
	s_delay_alu instid0(VALU_DEP_4) | instskip(SKIP_1) | instid1(VALU_DEP_4)
	v_mul_f64_e32 v[199:200], s[42:43], v[163:164]
	v_mul_f64_e32 v[231:232], s[46:47], v[163:164]
	v_fma_f64 v[95:96], v[18:19], v[40:41], -v[16:17]
	s_clause 0x1
	global_load_b128 v[18:21], v[97:98], off offset:640
	global_load_b128 v[32:35], v[97:98], off offset:656
	s_wait_loadcnt 0x1
	v_mul_f64_e32 v[16:17], v[14:15], v[20:21]
	s_delay_alu instid0(VALU_DEP_1) | instskip(SKIP_1) | instid1(VALU_DEP_1)
	v_fma_f64 v[16:17], v[12:13], v[18:19], v[16:17]
	v_mul_f64_e32 v[12:13], v[12:13], v[20:21]
	v_fma_f64 v[12:13], v[14:15], v[18:19], -v[12:13]
	s_clause 0x1
	global_load_b128 v[18:21], v[97:98], off offset:880
	global_load_b128 v[40:43], v[97:98], off offset:864
	s_wait_loadcnt 0x1
	v_mul_f64_e32 v[14:15], v[30:31], v[20:21]
	s_delay_alu instid0(VALU_DEP_1) | instskip(SKIP_1) | instid1(VALU_DEP_2)
	v_fma_f64 v[97:98], v[28:29], v[18:19], v[14:15]
	v_mul_f64_e32 v[14:15], v[28:29], v[20:21]
	v_add_f64_e32 v[121:122], v[16:17], v[97:98]
	s_delay_alu instid0(VALU_DEP_2) | instskip(SKIP_1) | instid1(VALU_DEP_1)
	v_fma_f64 v[99:100], v[30:31], v[18:19], -v[14:15]
	v_mul_f64_e32 v[14:15], v[26:27], v[38:39]
	v_fma_f64 v[101:102], v[24:25], v[36:37], v[14:15]
	v_mul_f64_e32 v[14:15], v[24:25], v[38:39]
	s_delay_alu instid0(VALU_DEP_4) | instskip(NEXT) | instid1(VALU_DEP_3)
	v_add_f64_e32 v[24:25], v[12:13], v[99:100]
	v_add_f64_e64 v[157:158], v[93:94], -v[101:102]
	s_delay_alu instid0(VALU_DEP_3) | instskip(SKIP_1) | instid1(VALU_DEP_2)
	v_fma_f64 v[103:104], v[26:27], v[36:37], -v[14:15]
	v_mul_f64_e32 v[14:15], v[6:7], v[34:35]
	v_add_f64_e64 v[159:160], v[95:96], -v[103:104]
	s_delay_alu instid0(VALU_DEP_2) | instskip(SKIP_1) | instid1(VALU_DEP_1)
	v_fma_f64 v[109:110], v[4:5], v[32:33], v[14:15]
	v_mul_f64_e32 v[4:5], v[4:5], v[34:35]
	v_fma_f64 v[111:112], v[6:7], v[32:33], -v[4:5]
	s_wait_loadcnt 0x0
	v_mul_f64_e32 v[4:5], v[10:11], v[42:43]
	s_delay_alu instid0(VALU_DEP_1) | instskip(SKIP_1) | instid1(VALU_DEP_2)
	v_fma_f64 v[105:106], v[8:9], v[40:41], v[4:5]
	v_mul_f64_e32 v[4:5], v[8:9], v[42:43]
	v_add_f64_e64 v[153:154], v[109:110], -v[105:106]
	s_delay_alu instid0(VALU_DEP_2) | instskip(SKIP_1) | instid1(VALU_DEP_3)
	v_fma_f64 v[107:108], v[10:11], v[40:41], -v[4:5]
	v_add_f64_e64 v[4:5], v[16:17], -v[97:98]
	v_mul_f64_e32 v[245:246], s[6:7], v[153:154]
	s_delay_alu instid0(VALU_DEP_3) | instskip(NEXT) | instid1(VALU_DEP_3)
	v_add_f64_e64 v[155:156], v[111:112], -v[107:108]
	v_mul_f64_e32 v[18:19], s[12:13], v[4:5]
	v_mul_f64_e32 v[6:7], s[0:1], v[4:5]
	;; [unrolled: 1-line block ×9, first 2 shown]
	v_fma_f64 v[34:35], v[24:25], s[20:21], v[18:19]
	v_fma_f64 v[36:37], v[24:25], s[20:21], -v[18:19]
	v_add_f64_e64 v[18:19], v[12:13], -v[99:100]
	v_fma_f64 v[26:27], v[24:25], s[30:31], v[6:7]
	v_fma_f64 v[6:7], v[24:25], s[30:31], -v[6:7]
	v_fma_f64 v[28:29], v[24:25], s[22:23], v[8:9]
	v_fma_f64 v[8:9], v[24:25], s[22:23], -v[8:9]
	;; [unrolled: 2-line block ×7, first 2 shown]
	v_add_f64_e32 v[34:35], v[2:3], v[34:35]
	v_mul_f64_e32 v[20:21], s[0:1], v[18:19]
	v_mul_f64_e32 v[22:23], s[2:3], v[18:19]
	;; [unrolled: 1-line block ×8, first 2 shown]
	v_add_f64_e32 v[191:192], v[2:3], v[28:29]
	v_add_f64_e32 v[187:188], v[2:3], v[40:41]
	;; [unrolled: 1-line block ×4, first 2 shown]
	v_mul_f64_e32 v[8:9], s[36:37], v[155:156]
	v_add_f64_e32 v[6:7], v[2:3], v[6:7]
	v_add_f64_e32 v[151:152], v[2:3], v[4:5]
	v_mul_f64_e32 v[4:5], s[36:37], v[153:154]
	v_add_f64_e32 v[42:43], v[2:3], v[42:43]
	v_add_f64_e32 v[46:47], v[2:3], v[46:47]
	;; [unrolled: 1-line block ×3, first 2 shown]
	v_fma_f64 v[123:124], v[121:122], s[30:31], -v[20:21]
	v_fma_f64 v[20:21], v[121:122], s[30:31], v[20:21]
	v_fma_f64 v[125:126], v[121:122], s[22:23], -v[22:23]
	v_fma_f64 v[22:23], v[121:122], s[22:23], v[22:23]
	;; [unrolled: 2-line block ×8, first 2 shown]
	v_add_f64_e32 v[117:118], v[2:3], v[12:13]
	v_add_f64_e32 v[119:120], v[0:1], v[16:17]
	v_add_f64_e32 v[12:13], v[2:3], v[26:27]
	v_add_f64_e32 v[26:27], v[2:3], v[32:33]
	v_add_f64_e32 v[18:19], v[2:3], v[30:31]
	v_add_f64_e32 v[30:31], v[2:3], v[14:15]
	v_add_f64_e32 v[143:144], v[0:1], v[123:124]
	v_add_f64_e32 v[189:190], v[0:1], v[20:21]
	v_add_f64_e32 v[193:194], v[0:1], v[125:126]
	v_add_f64_e32 v[197:198], v[0:1], v[22:23]
	v_add_f64_e32 v[16:17], v[0:1], v[127:128]
	v_add_f64_e32 v[22:23], v[2:3], v[10:11]
	v_add_f64_e32 v[20:21], v[0:1], v[24:25]
	v_add_f64_e32 v[24:25], v[0:1], v[129:130]
	v_add_f64_e32 v[28:29], v[0:1], v[38:39]
	v_add_f64_e32 v[32:33], v[0:1], v[131:132]
	v_add_f64_e32 v[38:39], v[2:3], v[36:37]
	v_add_f64_e32 v[36:37], v[0:1], v[115:116]
	v_add_f64_e32 v[185:186], v[0:1], v[133:134]
	v_add_f64_e32 v[40:41], v[0:1], v[135:136]
	v_add_f64_e32 v[173:174], v[0:1], v[137:138]
	v_add_f64_e32 v[149:150], v[0:1], v[121:122]
	v_add_f64_e32 v[121:122], v[111:112], v[107:108]
	v_add_f64_e32 v[44:45], v[0:1], v[139:140]
	v_add_f64_e32 v[115:116], v[0:1], v[141:142]
	v_add_f64_e32 v[125:126], v[95:96], v[103:104]
	v_mul_f64_e32 v[10:11], s[2:3], v[157:158]
	v_add_f64_e32 v[123:124], v[109:110], v[105:106]
	v_add_f64_e32 v[127:128], v[93:94], v[101:102]
	;; [unrolled: 1-line block ×5, first 2 shown]
	v_fma_f64 v[0:1], v[121:122], s[34:35], v[4:5]
	v_fma_f64 v[4:5], v[121:122], s[34:35], -v[4:5]
	v_fma_f64 v[2:3], v[123:124], s[34:35], -v[8:9]
	v_add_f64_e32 v[95:96], v[111:112], v[95:96]
	v_add_f64_e32 v[93:94], v[109:110], v[93:94]
	v_add_f64_e32 v[0:1], v[0:1], v[12:13]
	v_fma_f64 v[12:13], v[125:126], s[22:23], v[10:11]
	v_add_f64_e32 v[4:5], v[4:5], v[6:7]
	v_fma_f64 v[6:7], v[123:124], s[34:35], v[8:9]
	v_fma_f64 v[8:9], v[125:126], s[22:23], -v[10:11]
	v_add_f64_e32 v[2:3], v[2:3], v[143:144]
	v_fma_f64 v[10:11], v[147:148], s[20:21], v[217:218]
	v_add_f64_e32 v[87:88], v[95:96], v[87:88]
	v_add_f64_e32 v[0:1], v[12:13], v[0:1]
	v_mul_f64_e32 v[12:13], s[2:3], v[159:160]
	v_add_f64_e32 v[6:7], v[6:7], v[189:190]
	v_add_f64_e32 v[4:5], v[8:9], v[4:5]
	v_mul_f64_e32 v[189:190], s[12:13], v[157:158]
	s_delay_alu instid0(VALU_DEP_4) | instskip(SKIP_2) | instid1(VALU_DEP_3)
	v_fma_f64 v[14:15], v[127:128], s[22:23], -v[12:13]
	v_fma_f64 v[8:9], v[127:128], s[22:23], v[12:13]
	v_mul_f64_e32 v[12:13], s[38:39], v[153:154]
	v_add_f64_e32 v[2:3], v[14:15], v[2:3]
	v_mul_f64_e32 v[14:15], s[42:43], v[161:162]
	s_delay_alu instid0(VALU_DEP_4) | instskip(NEXT) | instid1(VALU_DEP_2)
	v_add_f64_e32 v[6:7], v[8:9], v[6:7]
	v_fma_f64 v[131:132], v[129:130], s[28:29], v[14:15]
	v_fma_f64 v[8:9], v[129:130], s[28:29], -v[14:15]
	v_mul_f64_e32 v[14:15], s[38:39], v[155:156]
	s_delay_alu instid0(VALU_DEP_3) | instskip(SKIP_1) | instid1(VALU_DEP_4)
	v_add_f64_e32 v[0:1], v[131:132], v[0:1]
	v_add_f64_e32 v[131:132], v[58:59], v[89:90]
	;; [unrolled: 1-line block ×4, first 2 shown]
	s_delay_alu instid0(VALU_DEP_3) | instskip(SKIP_1) | instid1(VALU_DEP_3)
	v_fma_f64 v[133:134], v[131:132], s[28:29], -v[199:200]
	v_fma_f64 v[8:9], v[131:132], s[28:29], v[199:200]
	v_add_f64_e32 v[58:59], v[58:59], v[83:84]
	s_delay_alu instid0(VALU_DEP_3) | instskip(SKIP_1) | instid1(VALU_DEP_4)
	v_add_f64_e32 v[2:3], v[133:134], v[2:3]
	v_add_f64_e32 v[133:134], v[85:86], v[56:57]
	;; [unrolled: 1-line block ×5, first 2 shown]
	s_delay_alu instid0(VALU_DEP_4) | instskip(SKIP_1) | instid1(VALU_DEP_2)
	v_fma_f64 v[135:136], v[133:134], s[24:25], v[201:202]
	v_fma_f64 v[8:9], v[133:134], s[24:25], -v[201:202]
	v_add_f64_e32 v[0:1], v[135:136], v[0:1]
	v_add_f64_e32 v[135:136], v[83:84], v[62:63]
	s_delay_alu instid0(VALU_DEP_3) | instskip(NEXT) | instid1(VALU_DEP_2)
	v_add_f64_e32 v[4:5], v[8:9], v[4:5]
	v_fma_f64 v[137:138], v[135:136], s[24:25], -v[203:204]
	v_fma_f64 v[8:9], v[135:136], s[24:25], v[203:204]
	s_delay_alu instid0(VALU_DEP_2) | instskip(SKIP_1) | instid1(VALU_DEP_3)
	v_add_f64_e32 v[2:3], v[137:138], v[2:3]
	v_add_f64_e32 v[137:138], v[81:82], v[60:61]
	;; [unrolled: 1-line block ×4, first 2 shown]
	s_delay_alu instid0(VALU_DEP_3) | instskip(SKIP_1) | instid1(VALU_DEP_2)
	v_fma_f64 v[139:140], v[137:138], s[26:27], v[205:206]
	v_fma_f64 v[8:9], v[137:138], s[26:27], -v[205:206]
	v_add_f64_e32 v[0:1], v[139:140], v[0:1]
	v_add_f64_e32 v[139:140], v[79:80], v[66:67]
	s_delay_alu instid0(VALU_DEP_3) | instskip(NEXT) | instid1(VALU_DEP_2)
	v_add_f64_e32 v[4:5], v[8:9], v[4:5]
	v_fma_f64 v[141:142], v[139:140], s[26:27], -v[207:208]
	v_fma_f64 v[8:9], v[139:140], s[26:27], v[207:208]
	s_delay_alu instid0(VALU_DEP_2) | instskip(SKIP_1) | instid1(VALU_DEP_3)
	v_add_f64_e32 v[2:3], v[141:142], v[2:3]
	v_add_f64_e32 v[141:142], v[77:78], v[64:65]
	;; [unrolled: 1-line block ×4, first 2 shown]
	s_delay_alu instid0(VALU_DEP_3) | instskip(SKIP_1) | instid1(VALU_DEP_2)
	v_fma_f64 v[143:144], v[141:142], s[18:19], v[209:210]
	v_fma_f64 v[8:9], v[141:142], s[18:19], -v[209:210]
	v_add_f64_e32 v[0:1], v[143:144], v[0:1]
	v_add_f64_e32 v[143:144], v[54:55], v[75:76]
	s_delay_alu instid0(VALU_DEP_3) | instskip(SKIP_1) | instid1(VALU_DEP_3)
	v_add_f64_e32 v[4:5], v[8:9], v[4:5]
	v_add_f64_e32 v[54:55], v[58:59], v[54:55]
	v_fma_f64 v[145:146], v[143:144], s[18:19], -v[211:212]
	v_fma_f64 v[8:9], v[143:144], s[18:19], v[211:212]
	s_delay_alu instid0(VALU_DEP_3) | instskip(NEXT) | instid1(VALU_DEP_3)
	v_add_f64_e32 v[54:55], v[54:55], v[73:74]
	v_add_f64_e32 v[213:214], v[145:146], v[2:3]
	;; [unrolled: 1-line block ×3, first 2 shown]
	s_delay_alu instid0(VALU_DEP_4) | instskip(SKIP_2) | instid1(VALU_DEP_4)
	v_add_f64_e32 v[8:9], v[8:9], v[6:7]
	v_add_f64_e32 v[48:49], v[77:78], v[48:49]
	;; [unrolled: 1-line block ×3, first 2 shown]
	v_fma_f64 v[6:7], v[145:146], s[20:21], -v[215:216]
	v_fma_f64 v[2:3], v[145:146], s[20:21], v[215:216]
	v_mul_f64_e32 v[215:216], s[10:11], v[181:182]
	v_add_f64_e32 v[48:49], v[48:49], v[52:53]
	v_add_f64_e32 v[50:51], v[50:51], v[75:76]
	;; [unrolled: 1-line block ×4, first 2 shown]
	v_fma_f64 v[8:9], v[121:122], s[26:27], v[12:13]
	v_fma_f64 v[10:11], v[123:124], s[26:27], -v[14:15]
	v_fma_f64 v[12:13], v[121:122], s[26:27], -v[12:13]
	v_fma_f64 v[14:15], v[123:124], s[26:27], v[14:15]
	v_add_f64_e32 v[2:3], v[2:3], v[0:1]
	v_fma_f64 v[0:1], v[147:148], s[20:21], -v[217:218]
	v_mul_f64_e32 v[217:218], s[10:11], v[183:184]
	v_add_f64_e32 v[48:49], v[48:49], v[64:65]
	v_add_f64_e32 v[50:51], v[50:51], v[66:67]
	;; [unrolled: 1-line block ×3, first 2 shown]
	v_fma_f64 v[191:192], v[125:126], s[20:21], v[189:190]
	v_add_f64_e32 v[10:11], v[10:11], v[193:194]
	v_add_f64_e32 v[12:13], v[12:13], v[195:196]
	v_fma_f64 v[189:190], v[125:126], s[20:21], -v[189:190]
	v_add_f64_e32 v[14:15], v[14:15], v[197:198]
	v_add_f64_e32 v[0:1], v[0:1], v[213:214]
	;; [unrolled: 1-line block ×5, first 2 shown]
	v_mul_f64_e32 v[191:192], s[12:13], v[159:160]
	v_add_f64_e32 v[12:13], v[189:190], v[12:13]
	v_add_f64_e32 v[48:49], v[48:49], v[56:57]
	;; [unrolled: 1-line block ×3, first 2 shown]
	s_delay_alu instid0(VALU_DEP_4)
	v_fma_f64 v[193:194], v[127:128], s[20:21], -v[191:192]
	v_fma_f64 v[189:190], v[127:128], s[20:21], v[191:192]
	v_fma_f64 v[191:192], v[147:148], s[18:19], v[217:218]
	v_add_f64_e32 v[48:49], v[48:49], v[91:92]
	v_add_f64_e32 v[50:51], v[50:51], v[101:102]
	;; [unrolled: 1-line block ×3, first 2 shown]
	v_mul_f64_e32 v[193:194], s[48:49], v[161:162]
	v_add_f64_e32 v[14:15], v[189:190], v[14:15]
	v_add_f64_e32 v[48:49], v[48:49], v[103:104]
	;; [unrolled: 1-line block ×3, first 2 shown]
	s_delay_alu instid0(VALU_DEP_4) | instskip(SKIP_1) | instid1(VALU_DEP_4)
	v_fma_f64 v[199:200], v[129:130], s[24:25], v[193:194]
	v_fma_f64 v[189:190], v[129:130], s[24:25], -v[193:194]
	v_add_f64_e32 v[48:49], v[48:49], v[107:108]
	s_delay_alu instid0(VALU_DEP_3) | instskip(SKIP_1) | instid1(VALU_DEP_4)
	v_add_f64_e32 v[8:9], v[199:200], v[8:9]
	v_mul_f64_e32 v[199:200], s[48:49], v[163:164]
	v_add_f64_e32 v[12:13], v[189:190], v[12:13]
	s_delay_alu instid0(VALU_DEP_4) | instskip(SKIP_1) | instid1(VALU_DEP_4)
	v_add_f64_e32 v[50:51], v[48:49], v[99:100]
	v_add_f64_e32 v[48:49], v[52:53], v[97:98]
	v_fma_f64 v[201:202], v[131:132], s[24:25], -v[199:200]
	v_fma_f64 v[189:190], v[131:132], s[24:25], v[199:200]
	s_delay_alu instid0(VALU_DEP_2) | instskip(SKIP_1) | instid1(VALU_DEP_3)
	v_add_f64_e32 v[10:11], v[201:202], v[10:11]
	v_mul_f64_e32 v[201:202], s[40:41], v[165:166]
	v_add_f64_e32 v[14:15], v[189:190], v[14:15]
	s_delay_alu instid0(VALU_DEP_2) | instskip(SKIP_1) | instid1(VALU_DEP_2)
	v_fma_f64 v[203:204], v[133:134], s[34:35], v[201:202]
	v_fma_f64 v[189:190], v[133:134], s[34:35], -v[201:202]
	v_add_f64_e32 v[8:9], v[203:204], v[8:9]
	v_mul_f64_e32 v[203:204], s[40:41], v[167:168]
	s_delay_alu instid0(VALU_DEP_3) | instskip(NEXT) | instid1(VALU_DEP_2)
	v_add_f64_e32 v[12:13], v[189:190], v[12:13]
	v_fma_f64 v[205:206], v[135:136], s[34:35], -v[203:204]
	v_fma_f64 v[189:190], v[135:136], s[34:35], v[203:204]
	s_delay_alu instid0(VALU_DEP_2) | instskip(SKIP_1) | instid1(VALU_DEP_3)
	v_add_f64_e32 v[10:11], v[205:206], v[10:11]
	v_mul_f64_e32 v[205:206], s[0:1], v[169:170]
	v_add_f64_e32 v[14:15], v[189:190], v[14:15]
	s_delay_alu instid0(VALU_DEP_2) | instskip(SKIP_1) | instid1(VALU_DEP_2)
	v_fma_f64 v[207:208], v[137:138], s[30:31], v[205:206]
	v_fma_f64 v[189:190], v[137:138], s[30:31], -v[205:206]
	v_add_f64_e32 v[8:9], v[207:208], v[8:9]
	v_mul_f64_e32 v[207:208], s[0:1], v[171:172]
	s_delay_alu instid0(VALU_DEP_3) | instskip(NEXT) | instid1(VALU_DEP_2)
	;; [unrolled: 13-line block ×3, first 2 shown]
	v_add_f64_e32 v[12:13], v[189:190], v[12:13]
	v_fma_f64 v[189:190], v[143:144], s[28:29], v[211:212]
	v_fma_f64 v[213:214], v[143:144], s[28:29], -v[211:212]
	s_delay_alu instid0(VALU_DEP_2) | instskip(SKIP_1) | instid1(VALU_DEP_3)
	v_add_f64_e32 v[189:190], v[189:190], v[14:15]
	v_fma_f64 v[14:15], v[145:146], s[18:19], -v[215:216]
	v_add_f64_e32 v[213:214], v[213:214], v[10:11]
	v_fma_f64 v[10:11], v[145:146], s[18:19], v[215:216]
	s_delay_alu instid0(VALU_DEP_3) | instskip(SKIP_2) | instid1(VALU_DEP_4)
	v_add_f64_e32 v[14:15], v[14:15], v[12:13]
	v_add_f64_e32 v[12:13], v[191:192], v[189:190]
	v_mul_f64_e32 v[189:190], s[46:47], v[153:154]
	v_add_f64_e32 v[10:11], v[10:11], v[8:9]
	v_fma_f64 v[8:9], v[147:148], s[18:19], -v[217:218]
	s_delay_alu instid0(VALU_DEP_3) | instskip(SKIP_1) | instid1(VALU_DEP_3)
	v_fma_f64 v[191:192], v[121:122], s[18:19], v[189:190]
	v_fma_f64 v[189:190], v[121:122], s[18:19], -v[189:190]
	v_add_f64_e32 v[8:9], v[8:9], v[213:214]
	s_delay_alu instid0(VALU_DEP_3) | instskip(SKIP_1) | instid1(VALU_DEP_4)
	v_add_f64_e32 v[18:19], v[191:192], v[18:19]
	v_mul_f64_e32 v[191:192], s[46:47], v[155:156]
	v_add_f64_e32 v[22:23], v[189:190], v[22:23]
	s_delay_alu instid0(VALU_DEP_2) | instskip(SKIP_1) | instid1(VALU_DEP_2)
	v_fma_f64 v[193:194], v[123:124], s[18:19], -v[191:192]
	v_fma_f64 v[189:190], v[123:124], s[18:19], v[191:192]
	v_add_f64_e32 v[16:17], v[193:194], v[16:17]
	v_mul_f64_e32 v[193:194], s[40:41], v[157:158]
	s_delay_alu instid0(VALU_DEP_3) | instskip(NEXT) | instid1(VALU_DEP_2)
	v_add_f64_e32 v[20:21], v[189:190], v[20:21]
	v_fma_f64 v[195:196], v[125:126], s[34:35], v[193:194]
	v_fma_f64 v[189:190], v[125:126], s[34:35], -v[193:194]
	s_delay_alu instid0(VALU_DEP_2) | instskip(SKIP_1) | instid1(VALU_DEP_3)
	v_add_f64_e32 v[18:19], v[195:196], v[18:19]
	v_mul_f64_e32 v[195:196], s[40:41], v[159:160]
	v_add_f64_e32 v[22:23], v[189:190], v[22:23]
	s_delay_alu instid0(VALU_DEP_2) | instskip(SKIP_1) | instid1(VALU_DEP_2)
	v_fma_f64 v[197:198], v[127:128], s[34:35], -v[195:196]
	v_fma_f64 v[189:190], v[127:128], s[34:35], v[195:196]
	v_add_f64_e32 v[16:17], v[197:198], v[16:17]
	v_mul_f64_e32 v[197:198], s[2:3], v[161:162]
	s_delay_alu instid0(VALU_DEP_3) | instskip(NEXT) | instid1(VALU_DEP_2)
	v_add_f64_e32 v[20:21], v[189:190], v[20:21]
	v_fma_f64 v[199:200], v[129:130], s[22:23], v[197:198]
	v_fma_f64 v[189:190], v[129:130], s[22:23], -v[197:198]
	s_delay_alu instid0(VALU_DEP_2) | instskip(SKIP_1) | instid1(VALU_DEP_3)
	;; [unrolled: 13-line block ×6, first 2 shown]
	v_add_f64_e32 v[18:19], v[215:216], v[18:19]
	v_mul_f64_e32 v[215:216], s[38:39], v[183:184]
	v_add_f64_e32 v[22:23], v[189:190], v[22:23]
	v_mul_f64_e32 v[189:190], s[50:51], v[153:154]
	s_delay_alu instid0(VALU_DEP_3) | instskip(SKIP_1) | instid1(VALU_DEP_2)
	v_fma_f64 v[191:192], v[147:148], s[26:27], v[215:216]
	v_fma_f64 v[217:218], v[147:148], s[26:27], -v[215:216]
	v_add_f64_e32 v[20:21], v[191:192], v[20:21]
	s_delay_alu instid0(VALU_DEP_4) | instskip(SKIP_1) | instid1(VALU_DEP_4)
	v_fma_f64 v[191:192], v[121:122], s[22:23], v[189:190]
	v_fma_f64 v[189:190], v[121:122], s[22:23], -v[189:190]
	v_add_f64_e32 v[16:17], v[217:218], v[16:17]
	s_delay_alu instid0(VALU_DEP_3) | instskip(SKIP_1) | instid1(VALU_DEP_4)
	v_add_f64_e32 v[26:27], v[191:192], v[26:27]
	v_mul_f64_e32 v[191:192], s[50:51], v[155:156]
	v_add_f64_e32 v[30:31], v[189:190], v[30:31]
	s_delay_alu instid0(VALU_DEP_2) | instskip(SKIP_1) | instid1(VALU_DEP_2)
	v_fma_f64 v[193:194], v[123:124], s[22:23], -v[191:192]
	v_fma_f64 v[189:190], v[123:124], s[22:23], v[191:192]
	v_add_f64_e32 v[24:25], v[193:194], v[24:25]
	v_mul_f64_e32 v[193:194], s[42:43], v[157:158]
	s_delay_alu instid0(VALU_DEP_3) | instskip(NEXT) | instid1(VALU_DEP_2)
	v_add_f64_e32 v[28:29], v[189:190], v[28:29]
	v_fma_f64 v[195:196], v[125:126], s[28:29], v[193:194]
	v_fma_f64 v[189:190], v[125:126], s[28:29], -v[193:194]
	s_delay_alu instid0(VALU_DEP_2) | instskip(SKIP_1) | instid1(VALU_DEP_3)
	v_add_f64_e32 v[26:27], v[195:196], v[26:27]
	v_mul_f64_e32 v[195:196], s[42:43], v[159:160]
	v_add_f64_e32 v[30:31], v[189:190], v[30:31]
	s_delay_alu instid0(VALU_DEP_2) | instskip(SKIP_1) | instid1(VALU_DEP_2)
	v_fma_f64 v[197:198], v[127:128], s[28:29], -v[195:196]
	v_fma_f64 v[189:190], v[127:128], s[28:29], v[195:196]
	v_add_f64_e32 v[24:25], v[197:198], v[24:25]
	v_mul_f64_e32 v[197:198], s[14:15], v[161:162]
	s_delay_alu instid0(VALU_DEP_3) | instskip(NEXT) | instid1(VALU_DEP_2)
	v_add_f64_e32 v[28:29], v[189:190], v[28:29]
	v_fma_f64 v[199:200], v[129:130], s[26:27], v[197:198]
	v_fma_f64 v[189:190], v[129:130], s[26:27], -v[197:198]
	s_delay_alu instid0(VALU_DEP_2) | instskip(SKIP_1) | instid1(VALU_DEP_3)
	;; [unrolled: 13-line block ×4, first 2 shown]
	v_add_f64_e32 v[26:27], v[207:208], v[26:27]
	v_mul_f64_e32 v[207:208], s[44:45], v[171:172]
	v_add_f64_e32 v[30:31], v[189:190], v[30:31]
	s_mov_b32 s45, 0x3fc7851a
	s_mov_b32 s44, s0
	s_wait_alu 0xfffe
	v_mul_f64_e32 v[241:242], s[44:45], v[157:158]
	v_mul_f64_e32 v[235:236], s[44:45], v[159:160]
	s_delay_alu instid0(VALU_DEP_4) | instskip(SKIP_1) | instid1(VALU_DEP_2)
	v_fma_f64 v[209:210], v[139:140], s[20:21], -v[207:208]
	v_fma_f64 v[189:190], v[139:140], s[20:21], v[207:208]
	v_add_f64_e32 v[24:25], v[209:210], v[24:25]
	v_mul_f64_e32 v[209:210], s[40:41], v[177:178]
	s_delay_alu instid0(VALU_DEP_3) | instskip(NEXT) | instid1(VALU_DEP_2)
	v_add_f64_e32 v[28:29], v[189:190], v[28:29]
	v_fma_f64 v[211:212], v[141:142], s[34:35], v[209:210]
	v_fma_f64 v[189:190], v[141:142], s[34:35], -v[209:210]
	s_delay_alu instid0(VALU_DEP_2) | instskip(SKIP_1) | instid1(VALU_DEP_3)
	v_add_f64_e32 v[26:27], v[211:212], v[26:27]
	v_mul_f64_e32 v[211:212], s[40:41], v[179:180]
	v_add_f64_e32 v[30:31], v[189:190], v[30:31]
	s_delay_alu instid0(VALU_DEP_2) | instskip(SKIP_1) | instid1(VALU_DEP_2)
	v_fma_f64 v[213:214], v[143:144], s[34:35], -v[211:212]
	v_fma_f64 v[189:190], v[143:144], s[34:35], v[211:212]
	v_add_f64_e32 v[24:25], v[213:214], v[24:25]
	v_mul_f64_e32 v[213:214], s[6:7], v[181:182]
	s_delay_alu instid0(VALU_DEP_3) | instskip(NEXT) | instid1(VALU_DEP_2)
	v_add_f64_e32 v[28:29], v[189:190], v[28:29]
	v_fma_f64 v[215:216], v[145:146], s[24:25], v[213:214]
	v_fma_f64 v[189:190], v[145:146], s[24:25], -v[213:214]
	s_delay_alu instid0(VALU_DEP_2) | instskip(SKIP_1) | instid1(VALU_DEP_3)
	v_add_f64_e32 v[26:27], v[215:216], v[26:27]
	v_mul_f64_e32 v[215:216], s[6:7], v[183:184]
	v_add_f64_e32 v[30:31], v[189:190], v[30:31]
	v_mul_f64_e32 v[189:190], s[0:1], v[153:154]
	s_delay_alu instid0(VALU_DEP_3) | instskip(SKIP_1) | instid1(VALU_DEP_2)
	v_fma_f64 v[191:192], v[147:148], s[24:25], v[215:216]
	v_fma_f64 v[217:218], v[147:148], s[24:25], -v[215:216]
	v_add_f64_e32 v[28:29], v[191:192], v[28:29]
	s_delay_alu instid0(VALU_DEP_4) | instskip(SKIP_1) | instid1(VALU_DEP_4)
	v_fma_f64 v[191:192], v[121:122], s[30:31], v[189:190]
	v_fma_f64 v[189:190], v[121:122], s[30:31], -v[189:190]
	v_add_f64_e32 v[24:25], v[217:218], v[24:25]
	s_delay_alu instid0(VALU_DEP_3) | instskip(SKIP_1) | instid1(VALU_DEP_4)
	v_add_f64_e32 v[34:35], v[191:192], v[34:35]
	v_mul_f64_e32 v[191:192], s[0:1], v[155:156]
	v_add_f64_e32 v[38:39], v[189:190], v[38:39]
	s_delay_alu instid0(VALU_DEP_2) | instskip(SKIP_1) | instid1(VALU_DEP_2)
	v_fma_f64 v[193:194], v[123:124], s[30:31], -v[191:192]
	v_fma_f64 v[189:190], v[123:124], s[30:31], v[191:192]
	v_add_f64_e32 v[32:33], v[193:194], v[32:33]
	v_mul_f64_e32 v[193:194], s[46:47], v[157:158]
	s_delay_alu instid0(VALU_DEP_3) | instskip(NEXT) | instid1(VALU_DEP_2)
	v_add_f64_e32 v[36:37], v[189:190], v[36:37]
	v_fma_f64 v[195:196], v[125:126], s[18:19], v[193:194]
	v_fma_f64 v[189:190], v[125:126], s[18:19], -v[193:194]
	s_delay_alu instid0(VALU_DEP_2) | instskip(SKIP_1) | instid1(VALU_DEP_3)
	v_add_f64_e32 v[34:35], v[195:196], v[34:35]
	v_mul_f64_e32 v[195:196], s[46:47], v[159:160]
	v_add_f64_e32 v[38:39], v[189:190], v[38:39]
	s_delay_alu instid0(VALU_DEP_2) | instskip(SKIP_1) | instid1(VALU_DEP_2)
	v_fma_f64 v[197:198], v[127:128], s[18:19], -v[195:196]
	v_fma_f64 v[189:190], v[127:128], s[18:19], v[195:196]
	v_add_f64_e32 v[32:33], v[197:198], v[32:33]
	v_mul_f64_e32 v[197:198], s[36:37], v[161:162]
	s_delay_alu instid0(VALU_DEP_3) | instskip(NEXT) | instid1(VALU_DEP_2)
	v_add_f64_e32 v[36:37], v[189:190], v[36:37]
	v_fma_f64 v[199:200], v[129:130], s[34:35], v[197:198]
	v_fma_f64 v[189:190], v[129:130], s[34:35], -v[197:198]
	s_delay_alu instid0(VALU_DEP_2) | instskip(SKIP_1) | instid1(VALU_DEP_3)
	;; [unrolled: 13-line block ×3, first 2 shown]
	v_add_f64_e32 v[34:35], v[203:204], v[34:35]
	v_mul_f64_e32 v[203:204], s[14:15], v[167:168]
	v_add_f64_e32 v[38:39], v[189:190], v[38:39]
	s_delay_alu instid0(VALU_DEP_2) | instskip(SKIP_1) | instid1(VALU_DEP_2)
	v_fma_f64 v[205:206], v[135:136], s[26:27], -v[203:204]
	v_fma_f64 v[189:190], v[135:136], s[26:27], v[203:204]
	v_add_f64_e32 v[32:33], v[205:206], v[32:33]
	v_mul_f64_e32 v[205:206], s[2:3], v[169:170]
	s_delay_alu instid0(VALU_DEP_3) | instskip(NEXT) | instid1(VALU_DEP_2)
	v_add_f64_e32 v[36:37], v[189:190], v[36:37]
	v_fma_f64 v[207:208], v[137:138], s[22:23], v[205:206]
	v_fma_f64 v[189:190], v[137:138], s[22:23], -v[205:206]
	v_mul_f64_e32 v[205:206], s[12:13], v[179:180]
	s_delay_alu instid0(VALU_DEP_3) | instskip(SKIP_1) | instid1(VALU_DEP_4)
	v_add_f64_e32 v[34:35], v[207:208], v[34:35]
	v_mul_f64_e32 v[207:208], s[2:3], v[171:172]
	v_add_f64_e32 v[38:39], v[189:190], v[38:39]
	s_delay_alu instid0(VALU_DEP_2) | instskip(SKIP_2) | instid1(VALU_DEP_3)
	v_fma_f64 v[209:210], v[139:140], s[22:23], -v[207:208]
	v_fma_f64 v[189:190], v[139:140], s[22:23], v[207:208]
	v_mul_f64_e32 v[207:208], s[2:3], v[181:182]
	v_add_f64_e32 v[32:33], v[209:210], v[32:33]
	v_mul_f64_e32 v[209:210], s[48:49], v[177:178]
	s_delay_alu instid0(VALU_DEP_4) | instskip(NEXT) | instid1(VALU_DEP_2)
	v_add_f64_e32 v[36:37], v[189:190], v[36:37]
	v_fma_f64 v[211:212], v[141:142], s[24:25], v[209:210]
	v_fma_f64 v[189:190], v[141:142], s[24:25], -v[209:210]
	v_mul_f64_e32 v[209:210], s[2:3], v[183:184]
	s_delay_alu instid0(VALU_DEP_3) | instskip(SKIP_1) | instid1(VALU_DEP_4)
	v_add_f64_e32 v[34:35], v[211:212], v[34:35]
	v_mul_f64_e32 v[211:212], s[48:49], v[179:180]
	v_add_f64_e32 v[38:39], v[189:190], v[38:39]
	s_delay_alu instid0(VALU_DEP_2) | instskip(SKIP_1) | instid1(VALU_DEP_2)
	v_fma_f64 v[213:214], v[143:144], s[24:25], -v[211:212]
	v_fma_f64 v[189:190], v[143:144], s[24:25], v[211:212]
	v_add_f64_e32 v[32:33], v[213:214], v[32:33]
	v_mul_f64_e32 v[213:214], s[42:43], v[181:182]
	s_delay_alu instid0(VALU_DEP_3) | instskip(NEXT) | instid1(VALU_DEP_2)
	v_add_f64_e32 v[36:37], v[189:190], v[36:37]
	v_fma_f64 v[189:190], v[145:146], s[28:29], -v[213:214]
	v_fma_f64 v[215:216], v[145:146], s[28:29], v[213:214]
	s_delay_alu instid0(VALU_DEP_2) | instskip(SKIP_1) | instid1(VALU_DEP_3)
	v_add_f64_e32 v[38:39], v[189:190], v[38:39]
	v_fma_f64 v[189:190], v[121:122], s[24:25], -v[245:246]
	v_add_f64_e32 v[34:35], v[215:216], v[34:35]
	v_mul_f64_e32 v[215:216], s[42:43], v[183:184]
	v_fma_f64 v[245:246], v[121:122], s[24:25], v[245:246]
	s_delay_alu instid0(VALU_DEP_4) | instskip(SKIP_1) | instid1(VALU_DEP_4)
	v_add_f64_e32 v[42:43], v[189:190], v[42:43]
	v_fma_f64 v[189:190], v[123:124], s[24:25], v[239:240]
	v_fma_f64 v[191:192], v[147:148], s[28:29], v[215:216]
	v_fma_f64 v[217:218], v[147:148], s[28:29], -v[215:216]
	v_fma_f64 v[239:240], v[123:124], s[24:25], -v[239:240]
	v_add_f64_e32 v[187:188], v[245:246], v[187:188]
	v_add_f64_e32 v[40:41], v[189:190], v[40:41]
	v_fma_f64 v[189:190], v[125:126], s[30:31], -v[241:242]
	v_add_f64_e32 v[36:37], v[191:192], v[36:37]
	v_add_f64_e32 v[32:33], v[217:218], v[32:33]
	;; [unrolled: 1-line block ×3, first 2 shown]
	v_fma_f64 v[239:240], v[125:126], s[30:31], v[241:242]
	v_add_f64_e32 v[42:43], v[189:190], v[42:43]
	v_fma_f64 v[189:190], v[127:128], s[30:31], v[235:236]
	v_fma_f64 v[235:236], v[127:128], s[30:31], -v[235:236]
	s_delay_alu instid0(VALU_DEP_4) | instskip(NEXT) | instid1(VALU_DEP_3)
	v_add_f64_e32 v[187:188], v[239:240], v[187:188]
	v_add_f64_e32 v[40:41], v[189:190], v[40:41]
	v_fma_f64 v[189:190], v[129:130], s[18:19], -v[237:238]
	s_delay_alu instid0(VALU_DEP_4) | instskip(SKIP_1) | instid1(VALU_DEP_3)
	v_add_f64_e32 v[185:186], v[235:236], v[185:186]
	v_fma_f64 v[235:236], v[129:130], s[18:19], v[237:238]
	v_add_f64_e32 v[42:43], v[189:190], v[42:43]
	v_fma_f64 v[189:190], v[131:132], s[18:19], v[231:232]
	v_fma_f64 v[231:232], v[131:132], s[18:19], -v[231:232]
	s_delay_alu instid0(VALU_DEP_4) | instskip(NEXT) | instid1(VALU_DEP_3)
	v_add_f64_e32 v[187:188], v[235:236], v[187:188]
	v_add_f64_e32 v[40:41], v[189:190], v[40:41]
	v_fma_f64 v[189:190], v[133:134], s[28:29], -v[233:234]
	s_delay_alu instid0(VALU_DEP_4) | instskip(SKIP_1) | instid1(VALU_DEP_3)
	v_add_f64_e32 v[185:186], v[231:232], v[185:186]
	;; [unrolled: 10-line block ×4, first 2 shown]
	v_fma_f64 v[223:224], v[141:142], s[20:21], v[225:226]
	v_add_f64_e32 v[42:43], v[189:190], v[42:43]
	v_fma_f64 v[189:190], v[143:144], s[20:21], v[205:206]
	v_fma_f64 v[205:206], v[143:144], s[20:21], -v[205:206]
	s_delay_alu instid0(VALU_DEP_4) | instskip(NEXT) | instid1(VALU_DEP_3)
	v_add_f64_e32 v[187:188], v[223:224], v[187:188]
	v_add_f64_e32 v[40:41], v[189:190], v[40:41]
	v_fma_f64 v[189:190], v[145:146], s[22:23], -v[207:208]
	s_delay_alu instid0(VALU_DEP_4) | instskip(SKIP_2) | instid1(VALU_DEP_4)
	v_add_f64_e32 v[185:186], v[205:206], v[185:186]
	v_fma_f64 v[205:206], v[145:146], s[22:23], v[207:208]
	v_fma_f64 v[207:208], v[147:148], s[22:23], -v[209:210]
	v_add_f64_e32 v[42:43], v[189:190], v[42:43]
	v_fma_f64 v[189:190], v[147:148], s[22:23], v[209:210]
	s_delay_alu instid0(VALU_DEP_4) | instskip(NEXT) | instid1(VALU_DEP_4)
	v_add_f64_e32 v[187:188], v[205:206], v[187:188]
	v_add_f64_e32 v[185:186], v[207:208], v[185:186]
	s_delay_alu instid0(VALU_DEP_3) | instskip(SKIP_2) | instid1(VALU_DEP_2)
	v_add_f64_e32 v[40:41], v[189:190], v[40:41]
	v_mul_f64_e32 v[189:190], s[12:13], v[153:154]
	v_mul_f64_e32 v[153:154], s[16:17], v[153:154]
	v_fma_f64 v[191:192], v[121:122], s[20:21], -v[189:190]
	v_fma_f64 v[189:190], v[121:122], s[20:21], v[189:190]
	s_delay_alu instid0(VALU_DEP_3) | instskip(NEXT) | instid1(VALU_DEP_3)
	v_fma_f64 v[52:53], v[121:122], s[28:29], v[153:154]
	v_add_f64_e32 v[46:47], v[191:192], v[46:47]
	v_mul_f64_e32 v[191:192], s[12:13], v[155:156]
	s_delay_alu instid0(VALU_DEP_4) | instskip(SKIP_2) | instid1(VALU_DEP_4)
	v_add_f64_e32 v[175:176], v[189:190], v[175:176]
	v_mul_f64_e32 v[155:156], s[16:17], v[155:156]
	v_add_f64_e32 v[52:53], v[52:53], v[113:114]
	v_fma_f64 v[193:194], v[123:124], s[20:21], v[191:192]
	v_fma_f64 v[189:190], v[123:124], s[20:21], -v[191:192]
	s_delay_alu instid0(VALU_DEP_4) | instskip(NEXT) | instid1(VALU_DEP_3)
	v_fma_f64 v[54:55], v[123:124], s[28:29], -v[155:156]
	v_add_f64_e32 v[44:45], v[193:194], v[44:45]
	v_mul_f64_e32 v[193:194], s[6:7], v[157:158]
	s_delay_alu instid0(VALU_DEP_4) | instskip(SKIP_2) | instid1(VALU_DEP_4)
	v_add_f64_e32 v[173:174], v[189:190], v[173:174]
	v_mul_f64_e32 v[157:158], s[14:15], v[157:158]
	v_add_f64_e32 v[54:55], v[54:55], v[115:116]
	v_fma_f64 v[195:196], v[125:126], s[24:25], -v[193:194]
	v_fma_f64 v[189:190], v[125:126], s[24:25], v[193:194]
	s_delay_alu instid0(VALU_DEP_4) | instskip(NEXT) | instid1(VALU_DEP_3)
	v_fma_f64 v[56:57], v[125:126], s[26:27], v[157:158]
	v_add_f64_e32 v[46:47], v[195:196], v[46:47]
	v_mul_f64_e32 v[195:196], s[6:7], v[159:160]
	s_delay_alu instid0(VALU_DEP_4) | instskip(SKIP_2) | instid1(VALU_DEP_4)
	v_add_f64_e32 v[175:176], v[189:190], v[175:176]
	v_mul_f64_e32 v[159:160], s[14:15], v[159:160]
	v_add_f64_e32 v[52:53], v[56:57], v[52:53]
	v_fma_f64 v[197:198], v[127:128], s[24:25], v[195:196]
	v_fma_f64 v[189:190], v[127:128], s[24:25], -v[195:196]
	s_delay_alu instid0(VALU_DEP_4) | instskip(NEXT) | instid1(VALU_DEP_3)
	v_fma_f64 v[58:59], v[127:128], s[26:27], -v[159:160]
	v_add_f64_e32 v[44:45], v[197:198], v[44:45]
	v_mul_f64_e32 v[197:198], s[0:1], v[161:162]
	s_delay_alu instid0(VALU_DEP_4) | instskip(SKIP_2) | instid1(VALU_DEP_4)
	v_add_f64_e32 v[173:174], v[189:190], v[173:174]
	v_mul_f64_e32 v[161:162], s[12:13], v[161:162]
	v_add_f64_e32 v[54:55], v[58:59], v[54:55]
	v_fma_f64 v[199:200], v[129:130], s[30:31], -v[197:198]
	v_fma_f64 v[189:190], v[129:130], s[30:31], v[197:198]
	s_delay_alu instid0(VALU_DEP_4) | instskip(NEXT) | instid1(VALU_DEP_3)
	;; [unrolled: 20-line block ×5, first 2 shown]
	v_fma_f64 v[56:57], v[141:142], s[22:23], v[177:178]
	v_add_f64_e32 v[46:47], v[217:218], v[46:47]
	v_mul_f64_e32 v[217:218], s[38:39], v[179:180]
	s_delay_alu instid0(VALU_DEP_4) | instskip(SKIP_2) | instid1(VALU_DEP_4)
	v_add_f64_e32 v[175:176], v[189:190], v[175:176]
	v_mul_f64_e32 v[179:180], s[2:3], v[179:180]
	v_add_f64_e32 v[52:53], v[56:57], v[52:53]
	v_fma_f64 v[219:220], v[143:144], s[26:27], v[217:218]
	v_fma_f64 v[189:190], v[143:144], s[26:27], -v[217:218]
	s_delay_alu instid0(VALU_DEP_4) | instskip(NEXT) | instid1(VALU_DEP_3)
	v_fma_f64 v[58:59], v[143:144], s[22:23], -v[179:180]
	v_add_f64_e32 v[44:45], v[219:220], v[44:45]
	v_mul_f64_e32 v[219:220], s[36:37], v[181:182]
	s_delay_alu instid0(VALU_DEP_4) | instskip(SKIP_2) | instid1(VALU_DEP_4)
	v_add_f64_e32 v[173:174], v[189:190], v[173:174]
	v_mul_f64_e32 v[181:182], s[0:1], v[181:182]
	v_add_f64_e32 v[56:57], v[58:59], v[54:55]
	v_fma_f64 v[189:190], v[145:146], s[34:35], v[219:220]
	v_fma_f64 v[221:222], v[145:146], s[34:35], -v[219:220]
	s_delay_alu instid0(VALU_DEP_4) | instskip(NEXT) | instid1(VALU_DEP_3)
	v_fma_f64 v[60:61], v[145:146], s[30:31], v[181:182]
	v_add_f64_e32 v[175:176], v[189:190], v[175:176]
	v_fma_f64 v[189:190], v[121:122], s[28:29], -v[153:154]
	s_delay_alu instid0(VALU_DEP_4)
	v_add_f64_e32 v[46:47], v[221:222], v[46:47]
	v_mul_f64_e32 v[221:222], s[36:37], v[183:184]
	v_mul_f64_e32 v[183:184], s[0:1], v[183:184]
	v_add_f64_e32 v[54:55], v[60:61], v[52:53]
	v_add_f64_e32 v[151:152], v[189:190], v[151:152]
	v_fma_f64 v[189:190], v[123:124], s[28:29], v[155:156]
	v_fma_f64 v[247:248], v[147:148], s[34:35], v[221:222]
	v_fma_f64 v[191:192], v[147:148], s[34:35], -v[221:222]
	v_fma_f64 v[62:63], v[147:148], s[30:31], -v[183:184]
	s_delay_alu instid0(VALU_DEP_4) | instskip(SKIP_4) | instid1(VALU_DEP_4)
	v_add_f64_e32 v[149:150], v[189:190], v[149:150]
	v_fma_f64 v[189:190], v[125:126], s[26:27], -v[157:158]
	v_add_f64_e32 v[44:45], v[247:248], v[44:45]
	v_add_f64_e32 v[173:174], v[191:192], v[173:174]
	;; [unrolled: 1-line block ×4, first 2 shown]
	v_fma_f64 v[189:190], v[127:128], s[26:27], v[159:160]
	s_delay_alu instid0(VALU_DEP_1) | instskip(SKIP_1) | instid1(VALU_DEP_1)
	v_add_f64_e32 v[149:150], v[189:190], v[149:150]
	v_fma_f64 v[189:190], v[129:130], s[20:21], -v[161:162]
	v_add_f64_e32 v[151:152], v[189:190], v[151:152]
	v_fma_f64 v[189:190], v[131:132], s[20:21], v[163:164]
	s_delay_alu instid0(VALU_DEP_1) | instskip(SKIP_1) | instid1(VALU_DEP_1)
	v_add_f64_e32 v[149:150], v[189:190], v[149:150]
	v_fma_f64 v[189:190], v[133:134], s[18:19], -v[165:166]
	v_add_f64_e32 v[151:152], v[189:190], v[151:152]
	;; [unrolled: 5-line block ×5, first 2 shown]
	v_fma_f64 v[189:190], v[147:148], s[30:31], v[183:184]
	s_delay_alu instid0(VALU_DEP_1)
	v_add_f64_e32 v[149:150], v[189:190], v[149:150]
	ds_store_b128 v243, v[44:47] offset:1600
	ds_store_b128 v243, v[40:43] offset:2400
	;; [unrolled: 1-line block ×14, first 2 shown]
	ds_store_b128 v243, v[48:51]
	ds_store_b128 v243, v[149:152] offset:800
	ds_store_b128 v243, v[52:55] offset:12800
.LBB0_17:
	s_or_b32 exec_lo, exec_lo, s33
	global_wb scope:SCOPE_SE
	s_wait_dscnt 0x0
	s_barrier_signal -1
	s_barrier_wait -1
	global_inv scope:SCOPE_SE
	ds_load_b128 v[4:7], v243
	v_sub_nc_u32_e32 v14, 0, v69
	s_mov_b32 s1, exec_lo
                                        ; implicit-def: $vgpr0_vgpr1
                                        ; implicit-def: $vgpr8_vgpr9
                                        ; implicit-def: $vgpr10_vgpr11
                                        ; implicit-def: $vgpr12_vgpr13
	v_cmpx_ne_u32_e32 0, v68
	s_wait_alu 0xfffe
	s_xor_b32 s1, exec_lo, s1
	s_cbranch_execz .LBB0_19
; %bb.18:
	v_mov_b32_e32 v69, 0
	s_delay_alu instid0(VALU_DEP_1) | instskip(NEXT) | instid1(VALU_DEP_1)
	v_lshlrev_b64_e32 v[0:1], 4, v[68:69]
	v_add_co_u32 v0, s0, s4, v0
	s_wait_alu 0xf1ff
	s_delay_alu instid0(VALU_DEP_2)
	v_add_co_ci_u32_e64 v1, s0, s5, v1, s0
	global_load_b128 v[15:18], v[0:1], off offset:13440
	ds_load_b128 v[0:3], v14 offset:13600
	s_wait_dscnt 0x0
	v_add_f64_e64 v[8:9], v[4:5], -v[0:1]
	v_add_f64_e32 v[10:11], v[6:7], v[2:3]
	v_add_f64_e64 v[2:3], v[6:7], -v[2:3]
	v_add_f64_e32 v[0:1], v[4:5], v[0:1]
	s_delay_alu instid0(VALU_DEP_4) | instskip(NEXT) | instid1(VALU_DEP_4)
	v_mul_f64_e32 v[6:7], 0.5, v[8:9]
	v_mul_f64_e32 v[4:5], 0.5, v[10:11]
	s_delay_alu instid0(VALU_DEP_4) | instskip(SKIP_1) | instid1(VALU_DEP_3)
	v_mul_f64_e32 v[2:3], 0.5, v[2:3]
	s_wait_loadcnt 0x0
	v_mul_f64_e32 v[8:9], v[6:7], v[17:18]
	s_delay_alu instid0(VALU_DEP_2) | instskip(SKIP_1) | instid1(VALU_DEP_3)
	v_fma_f64 v[10:11], v[4:5], v[17:18], v[2:3]
	v_fma_f64 v[2:3], v[4:5], v[17:18], -v[2:3]
	v_fma_f64 v[12:13], v[0:1], 0.5, v[8:9]
	v_fma_f64 v[0:1], v[0:1], 0.5, -v[8:9]
	s_delay_alu instid0(VALU_DEP_4) | instskip(NEXT) | instid1(VALU_DEP_4)
	v_fma_f64 v[10:11], -v[15:16], v[6:7], v[10:11]
	v_fma_f64 v[2:3], -v[15:16], v[6:7], v[2:3]
	s_delay_alu instid0(VALU_DEP_4) | instskip(NEXT) | instid1(VALU_DEP_4)
	v_fma_f64 v[8:9], v[4:5], v[15:16], v[12:13]
	v_fma_f64 v[0:1], -v[4:5], v[15:16], v[0:1]
	v_dual_mov_b32 v12, v68 :: v_dual_mov_b32 v13, v69
                                        ; implicit-def: $vgpr4_vgpr5
.LBB0_19:
	s_wait_alu 0xfffe
	s_and_not1_saveexec_b32 s0, s1
	s_cbranch_execz .LBB0_21
; %bb.20:
	s_wait_dscnt 0x0
	v_add_f64_e32 v[8:9], v[4:5], v[6:7]
	v_add_f64_e64 v[0:1], v[4:5], -v[6:7]
	v_mov_b32_e32 v6, 0
	v_mov_b32_e32 v10, 0
	v_dual_mov_b32 v11, 0 :: v_dual_mov_b32 v12, 0
	s_delay_alu instid0(VALU_DEP_2)
	v_mov_b32_e32 v2, v10
	ds_load_b64 v[4:5], v6 offset:6808
	v_mov_b32_e32 v13, 0
	v_mov_b32_e32 v3, v11
	s_wait_dscnt 0x0
	v_xor_b32_e32 v5, 0x80000000, v5
	ds_store_b64 v6, v[4:5] offset:6808
.LBB0_21:
	s_wait_alu 0xfffe
	s_or_b32 exec_lo, exec_lo, s0
	v_mov_b32_e32 v73, 0
	s_wait_dscnt 0x0
	s_delay_alu instid0(VALU_DEP_1) | instskip(NEXT) | instid1(VALU_DEP_1)
	v_lshlrev_b64_e32 v[4:5], 4, v[72:73]
	v_add_co_u32 v4, s0, s4, v4
	s_wait_alu 0xf1ff
	s_delay_alu instid0(VALU_DEP_2) | instskip(SKIP_4) | instid1(VALU_DEP_1)
	v_add_co_ci_u32_e64 v5, s0, s5, v5, s0
	s_add_nc_u64 s[0:1], s[4:5], 0x3480
	global_load_b128 v[15:18], v[4:5], off offset:13440
	v_lshlrev_b64_e32 v[4:5], 4, v[12:13]
	s_wait_alu 0xfffe
	v_add_co_u32 v23, s0, s0, v4
	s_wait_alu 0xf1ff
	s_delay_alu instid0(VALU_DEP_2)
	v_add_co_ci_u32_e64 v24, s0, s1, v5, s0
	global_load_b128 v[19:22], v[23:24], off offset:2720
	ds_store_2addr_b64 v243, v[8:9], v[10:11] offset1:1
	ds_store_b128 v14, v[0:3] offset:13600
	ds_load_b128 v[0:3], v244
	ds_load_b128 v[6:9], v14 offset:12240
	s_wait_dscnt 0x0
	v_add_f64_e64 v[10:11], v[0:1], -v[6:7]
	v_add_f64_e32 v[12:13], v[2:3], v[8:9]
	v_add_f64_e64 v[2:3], v[2:3], -v[8:9]
	v_add_f64_e32 v[0:1], v[0:1], v[6:7]
	s_delay_alu instid0(VALU_DEP_4) | instskip(NEXT) | instid1(VALU_DEP_4)
	v_mul_f64_e32 v[8:9], 0.5, v[10:11]
	v_mul_f64_e32 v[10:11], 0.5, v[12:13]
	s_delay_alu instid0(VALU_DEP_4) | instskip(SKIP_1) | instid1(VALU_DEP_3)
	v_mul_f64_e32 v[2:3], 0.5, v[2:3]
	s_wait_loadcnt 0x1
	v_mul_f64_e32 v[6:7], v[8:9], v[17:18]
	s_delay_alu instid0(VALU_DEP_2) | instskip(SKIP_1) | instid1(VALU_DEP_3)
	v_fma_f64 v[12:13], v[10:11], v[17:18], v[2:3]
	v_fma_f64 v[2:3], v[10:11], v[17:18], -v[2:3]
	v_fma_f64 v[17:18], v[0:1], 0.5, v[6:7]
	v_fma_f64 v[0:1], v[0:1], 0.5, -v[6:7]
	s_delay_alu instid0(VALU_DEP_4) | instskip(NEXT) | instid1(VALU_DEP_4)
	v_fma_f64 v[12:13], -v[15:16], v[8:9], v[12:13]
	v_fma_f64 v[2:3], -v[15:16], v[8:9], v[2:3]
	global_load_b128 v[6:9], v[23:24], off offset:4080
	v_fma_f64 v[17:18], v[10:11], v[15:16], v[17:18]
	v_fma_f64 v[0:1], -v[10:11], v[15:16], v[0:1]
	ds_store_2addr_b64 v244, v[17:18], v[12:13] offset1:1
	ds_store_b128 v14, v[0:3] offset:12240
	ds_load_b128 v[0:3], v243 offset:2720
	ds_load_b128 v[10:13], v14 offset:10880
	s_wait_dscnt 0x0
	v_add_f64_e64 v[15:16], v[0:1], -v[10:11]
	v_add_f64_e32 v[17:18], v[2:3], v[12:13]
	v_add_f64_e64 v[2:3], v[2:3], -v[12:13]
	v_add_f64_e32 v[0:1], v[0:1], v[10:11]
	s_delay_alu instid0(VALU_DEP_4) | instskip(NEXT) | instid1(VALU_DEP_4)
	v_mul_f64_e32 v[12:13], 0.5, v[15:16]
	v_mul_f64_e32 v[15:16], 0.5, v[17:18]
	s_delay_alu instid0(VALU_DEP_4) | instskip(SKIP_1) | instid1(VALU_DEP_3)
	v_mul_f64_e32 v[2:3], 0.5, v[2:3]
	s_wait_loadcnt 0x1
	v_mul_f64_e32 v[10:11], v[12:13], v[21:22]
	s_delay_alu instid0(VALU_DEP_2) | instskip(SKIP_1) | instid1(VALU_DEP_3)
	v_fma_f64 v[17:18], v[15:16], v[21:22], v[2:3]
	v_fma_f64 v[2:3], v[15:16], v[21:22], -v[2:3]
	v_fma_f64 v[21:22], v[0:1], 0.5, v[10:11]
	v_fma_f64 v[0:1], v[0:1], 0.5, -v[10:11]
	s_delay_alu instid0(VALU_DEP_4) | instskip(NEXT) | instid1(VALU_DEP_4)
	v_fma_f64 v[17:18], -v[19:20], v[12:13], v[17:18]
	v_fma_f64 v[2:3], -v[19:20], v[12:13], v[2:3]
	global_load_b128 v[10:13], v[23:24], off offset:5440
	v_add_nc_u32_e32 v23, 0x800, v243
	v_fma_f64 v[21:22], v[15:16], v[19:20], v[21:22]
	v_fma_f64 v[0:1], -v[15:16], v[19:20], v[0:1]
	ds_store_2addr_b64 v23, v[21:22], v[17:18] offset0:84 offset1:85
	ds_store_b128 v14, v[0:3] offset:10880
	ds_load_b128 v[0:3], v243 offset:4080
	ds_load_b128 v[15:18], v14 offset:9520
	s_wait_dscnt 0x0
	v_add_f64_e64 v[19:20], v[0:1], -v[15:16]
	v_add_f64_e32 v[21:22], v[2:3], v[17:18]
	v_add_f64_e64 v[2:3], v[2:3], -v[17:18]
	v_add_f64_e32 v[0:1], v[0:1], v[15:16]
	s_delay_alu instid0(VALU_DEP_4) | instskip(NEXT) | instid1(VALU_DEP_4)
	v_mul_f64_e32 v[17:18], 0.5, v[19:20]
	v_mul_f64_e32 v[19:20], 0.5, v[21:22]
	s_delay_alu instid0(VALU_DEP_4) | instskip(SKIP_1) | instid1(VALU_DEP_3)
	v_mul_f64_e32 v[2:3], 0.5, v[2:3]
	s_wait_loadcnt 0x1
	v_mul_f64_e32 v[15:16], v[17:18], v[8:9]
	s_delay_alu instid0(VALU_DEP_2) | instskip(SKIP_1) | instid1(VALU_DEP_3)
	v_fma_f64 v[21:22], v[19:20], v[8:9], v[2:3]
	v_fma_f64 v[2:3], v[19:20], v[8:9], -v[2:3]
	v_fma_f64 v[8:9], v[0:1], 0.5, v[15:16]
	v_fma_f64 v[0:1], v[0:1], 0.5, -v[15:16]
	s_delay_alu instid0(VALU_DEP_4) | instskip(NEXT) | instid1(VALU_DEP_4)
	v_fma_f64 v[15:16], -v[6:7], v[17:18], v[21:22]
	v_fma_f64 v[2:3], -v[6:7], v[17:18], v[2:3]
	s_delay_alu instid0(VALU_DEP_4) | instskip(NEXT) | instid1(VALU_DEP_4)
	v_fma_f64 v[8:9], v[19:20], v[6:7], v[8:9]
	v_fma_f64 v[0:1], -v[19:20], v[6:7], v[0:1]
	ds_store_2addr_b64 v23, v[8:9], v[15:16] offset0:254 offset1:255
	ds_store_b128 v14, v[0:3] offset:9520
	ds_load_b128 v[0:3], v243 offset:5440
	ds_load_b128 v[6:9], v14 offset:8160
	s_wait_dscnt 0x0
	v_add_f64_e64 v[15:16], v[0:1], -v[6:7]
	v_add_f64_e32 v[17:18], v[2:3], v[8:9]
	v_add_f64_e64 v[2:3], v[2:3], -v[8:9]
	v_add_f64_e32 v[0:1], v[0:1], v[6:7]
	s_delay_alu instid0(VALU_DEP_4) | instskip(NEXT) | instid1(VALU_DEP_4)
	v_mul_f64_e32 v[8:9], 0.5, v[15:16]
	v_mul_f64_e32 v[15:16], 0.5, v[17:18]
	s_delay_alu instid0(VALU_DEP_4) | instskip(SKIP_1) | instid1(VALU_DEP_3)
	v_mul_f64_e32 v[2:3], 0.5, v[2:3]
	s_wait_loadcnt 0x0
	v_mul_f64_e32 v[6:7], v[8:9], v[12:13]
	s_delay_alu instid0(VALU_DEP_2) | instskip(SKIP_1) | instid1(VALU_DEP_3)
	v_fma_f64 v[17:18], v[15:16], v[12:13], v[2:3]
	v_fma_f64 v[2:3], v[15:16], v[12:13], -v[2:3]
	v_fma_f64 v[12:13], v[0:1], 0.5, v[6:7]
	v_fma_f64 v[0:1], v[0:1], 0.5, -v[6:7]
	s_delay_alu instid0(VALU_DEP_4) | instskip(NEXT) | instid1(VALU_DEP_4)
	v_fma_f64 v[6:7], -v[10:11], v[8:9], v[17:18]
	v_fma_f64 v[2:3], -v[10:11], v[8:9], v[2:3]
	s_delay_alu instid0(VALU_DEP_4) | instskip(NEXT) | instid1(VALU_DEP_4)
	v_fma_f64 v[8:9], v[15:16], v[10:11], v[12:13]
	v_fma_f64 v[0:1], -v[15:16], v[10:11], v[0:1]
	v_add_nc_u32_e32 v10, 0x1000, v243
	ds_store_2addr_b64 v10, v[8:9], v[6:7] offset0:168 offset1:169
	ds_store_b128 v14, v[0:3] offset:8160
	global_wb scope:SCOPE_SE
	s_wait_dscnt 0x0
	s_barrier_signal -1
	s_barrier_wait -1
	global_inv scope:SCOPE_SE
	s_and_saveexec_b32 s0, vcc_lo
	s_cbranch_execz .LBB0_24
; %bb.22:
	ds_load_b128 v[6:9], v243
	ds_load_b128 v[10:13], v243 offset:1360
	ds_load_b128 v[14:17], v243 offset:2720
	ds_load_b128 v[18:21], v243 offset:4080
	ds_load_b128 v[22:25], v243 offset:5440
	ds_load_b128 v[26:29], v243 offset:6800
	ds_load_b128 v[30:33], v243 offset:8160
	ds_load_b128 v[34:37], v243 offset:9520
	ds_load_b128 v[38:41], v243 offset:10880
	ds_load_b128 v[42:45], v243 offset:12240
	v_add_co_u32 v0, vcc_lo, s8, v70
	s_wait_alu 0xfffd
	v_add_co_ci_u32_e32 v1, vcc_lo, s9, v71, vcc_lo
	s_delay_alu instid0(VALU_DEP_2) | instskip(SKIP_1) | instid1(VALU_DEP_2)
	v_add_co_u32 v2, vcc_lo, v0, v4
	s_wait_alu 0xfffd
	v_add_co_ci_u32_e32 v3, vcc_lo, v1, v5, vcc_lo
	v_cmp_eq_u32_e32 vcc_lo, 0x54, v68
	s_wait_dscnt 0x9
	global_store_b128 v[2:3], v[6:9], off
	s_wait_dscnt 0x8
	global_store_b128 v[2:3], v[10:13], off offset:1360
	s_wait_dscnt 0x7
	global_store_b128 v[2:3], v[14:17], off offset:2720
	;; [unrolled: 2-line block ×9, first 2 shown]
	s_and_b32 exec_lo, exec_lo, vcc_lo
	s_cbranch_execz .LBB0_24
; %bb.23:
	v_mov_b32_e32 v2, 0
	ds_load_b128 v[2:5], v2 offset:13600
	s_wait_dscnt 0x0
	global_store_b128 v[0:1], v[2:5], off offset:13600
.LBB0_24:
	s_nop 0
	s_sendmsg sendmsg(MSG_DEALLOC_VGPRS)
	s_endpgm
	.section	.rodata,"a",@progbits
	.p2align	6, 0x0
	.amdhsa_kernel fft_rtc_back_len850_factors_10_5_17_wgs_85_tpt_85_dp_ip_CI_unitstride_sbrr_R2C_dirReg
		.amdhsa_group_segment_fixed_size 0
		.amdhsa_private_segment_fixed_size 0
		.amdhsa_kernarg_size 88
		.amdhsa_user_sgpr_count 2
		.amdhsa_user_sgpr_dispatch_ptr 0
		.amdhsa_user_sgpr_queue_ptr 0
		.amdhsa_user_sgpr_kernarg_segment_ptr 1
		.amdhsa_user_sgpr_dispatch_id 0
		.amdhsa_user_sgpr_private_segment_size 0
		.amdhsa_wavefront_size32 1
		.amdhsa_uses_dynamic_stack 0
		.amdhsa_enable_private_segment 0
		.amdhsa_system_sgpr_workgroup_id_x 1
		.amdhsa_system_sgpr_workgroup_id_y 0
		.amdhsa_system_sgpr_workgroup_id_z 0
		.amdhsa_system_sgpr_workgroup_info 0
		.amdhsa_system_vgpr_workitem_id 0
		.amdhsa_next_free_vgpr 249
		.amdhsa_next_free_sgpr 52
		.amdhsa_reserve_vcc 1
		.amdhsa_float_round_mode_32 0
		.amdhsa_float_round_mode_16_64 0
		.amdhsa_float_denorm_mode_32 3
		.amdhsa_float_denorm_mode_16_64 3
		.amdhsa_fp16_overflow 0
		.amdhsa_workgroup_processor_mode 1
		.amdhsa_memory_ordered 1
		.amdhsa_forward_progress 0
		.amdhsa_round_robin_scheduling 0
		.amdhsa_exception_fp_ieee_invalid_op 0
		.amdhsa_exception_fp_denorm_src 0
		.amdhsa_exception_fp_ieee_div_zero 0
		.amdhsa_exception_fp_ieee_overflow 0
		.amdhsa_exception_fp_ieee_underflow 0
		.amdhsa_exception_fp_ieee_inexact 0
		.amdhsa_exception_int_div_zero 0
	.end_amdhsa_kernel
	.text
.Lfunc_end0:
	.size	fft_rtc_back_len850_factors_10_5_17_wgs_85_tpt_85_dp_ip_CI_unitstride_sbrr_R2C_dirReg, .Lfunc_end0-fft_rtc_back_len850_factors_10_5_17_wgs_85_tpt_85_dp_ip_CI_unitstride_sbrr_R2C_dirReg
                                        ; -- End function
	.section	.AMDGPU.csdata,"",@progbits
; Kernel info:
; codeLenInByte = 12096
; NumSgprs: 54
; NumVgprs: 249
; ScratchSize: 0
; MemoryBound: 0
; FloatMode: 240
; IeeeMode: 1
; LDSByteSize: 0 bytes/workgroup (compile time only)
; SGPRBlocks: 6
; VGPRBlocks: 31
; NumSGPRsForWavesPerEU: 54
; NumVGPRsForWavesPerEU: 249
; Occupancy: 5
; WaveLimiterHint : 1
; COMPUTE_PGM_RSRC2:SCRATCH_EN: 0
; COMPUTE_PGM_RSRC2:USER_SGPR: 2
; COMPUTE_PGM_RSRC2:TRAP_HANDLER: 0
; COMPUTE_PGM_RSRC2:TGID_X_EN: 1
; COMPUTE_PGM_RSRC2:TGID_Y_EN: 0
; COMPUTE_PGM_RSRC2:TGID_Z_EN: 0
; COMPUTE_PGM_RSRC2:TIDIG_COMP_CNT: 0
	.text
	.p2alignl 7, 3214868480
	.fill 96, 4, 3214868480
	.type	__hip_cuid_9fa5d70b898b1327,@object ; @__hip_cuid_9fa5d70b898b1327
	.section	.bss,"aw",@nobits
	.globl	__hip_cuid_9fa5d70b898b1327
__hip_cuid_9fa5d70b898b1327:
	.byte	0                               ; 0x0
	.size	__hip_cuid_9fa5d70b898b1327, 1

	.ident	"AMD clang version 19.0.0git (https://github.com/RadeonOpenCompute/llvm-project roc-6.4.0 25133 c7fe45cf4b819c5991fe208aaa96edf142730f1d)"
	.section	".note.GNU-stack","",@progbits
	.addrsig
	.addrsig_sym __hip_cuid_9fa5d70b898b1327
	.amdgpu_metadata
---
amdhsa.kernels:
  - .args:
      - .actual_access:  read_only
        .address_space:  global
        .offset:         0
        .size:           8
        .value_kind:     global_buffer
      - .offset:         8
        .size:           8
        .value_kind:     by_value
      - .actual_access:  read_only
        .address_space:  global
        .offset:         16
        .size:           8
        .value_kind:     global_buffer
      - .actual_access:  read_only
        .address_space:  global
        .offset:         24
        .size:           8
        .value_kind:     global_buffer
      - .offset:         32
        .size:           8
        .value_kind:     by_value
      - .actual_access:  read_only
        .address_space:  global
        .offset:         40
        .size:           8
        .value_kind:     global_buffer
      - .actual_access:  read_only
        .address_space:  global
        .offset:         48
        .size:           8
        .value_kind:     global_buffer
      - .offset:         56
        .size:           4
        .value_kind:     by_value
      - .actual_access:  read_only
        .address_space:  global
        .offset:         64
        .size:           8
        .value_kind:     global_buffer
      - .actual_access:  read_only
        .address_space:  global
        .offset:         72
        .size:           8
        .value_kind:     global_buffer
      - .address_space:  global
        .offset:         80
        .size:           8
        .value_kind:     global_buffer
    .group_segment_fixed_size: 0
    .kernarg_segment_align: 8
    .kernarg_segment_size: 88
    .language:       OpenCL C
    .language_version:
      - 2
      - 0
    .max_flat_workgroup_size: 85
    .name:           fft_rtc_back_len850_factors_10_5_17_wgs_85_tpt_85_dp_ip_CI_unitstride_sbrr_R2C_dirReg
    .private_segment_fixed_size: 0
    .sgpr_count:     54
    .sgpr_spill_count: 0
    .symbol:         fft_rtc_back_len850_factors_10_5_17_wgs_85_tpt_85_dp_ip_CI_unitstride_sbrr_R2C_dirReg.kd
    .uniform_work_group_size: 1
    .uses_dynamic_stack: false
    .vgpr_count:     249
    .vgpr_spill_count: 0
    .wavefront_size: 32
    .workgroup_processor_mode: 1
amdhsa.target:   amdgcn-amd-amdhsa--gfx1201
amdhsa.version:
  - 1
  - 2
...

	.end_amdgpu_metadata
